;; amdgpu-corpus repo=ROCm/rocFFT kind=compiled arch=gfx1201 opt=O3
	.text
	.amdgcn_target "amdgcn-amd-amdhsa--gfx1201"
	.amdhsa_code_object_version 6
	.protected	fft_rtc_back_len816_factors_17_2_3_2_2_2_wgs_51_tpt_51_halfLds_dp_op_CI_CI_unitstride_sbrr_R2C_dirReg ; -- Begin function fft_rtc_back_len816_factors_17_2_3_2_2_2_wgs_51_tpt_51_halfLds_dp_op_CI_CI_unitstride_sbrr_R2C_dirReg
	.globl	fft_rtc_back_len816_factors_17_2_3_2_2_2_wgs_51_tpt_51_halfLds_dp_op_CI_CI_unitstride_sbrr_R2C_dirReg
	.p2align	8
	.type	fft_rtc_back_len816_factors_17_2_3_2_2_2_wgs_51_tpt_51_halfLds_dp_op_CI_CI_unitstride_sbrr_R2C_dirReg,@function
fft_rtc_back_len816_factors_17_2_3_2_2_2_wgs_51_tpt_51_halfLds_dp_op_CI_CI_unitstride_sbrr_R2C_dirReg: ; @fft_rtc_back_len816_factors_17_2_3_2_2_2_wgs_51_tpt_51_halfLds_dp_op_CI_CI_unitstride_sbrr_R2C_dirReg
; %bb.0:
	s_clause 0x2
	s_load_b128 s[8:11], s[0:1], 0x0
	s_load_b128 s[4:7], s[0:1], 0x58
	;; [unrolled: 1-line block ×3, first 2 shown]
	v_mul_u32_u24_e32 v1, 0x506, v0
	v_mov_b32_e32 v3, 0
	s_delay_alu instid0(VALU_DEP_2) | instskip(NEXT) | instid1(VALU_DEP_1)
	v_lshrrev_b32_e32 v1, 16, v1
	v_add_nc_u32_e32 v5, ttmp9, v1
	v_mov_b32_e32 v1, 0
	v_mov_b32_e32 v2, 0
	;; [unrolled: 1-line block ×3, first 2 shown]
	s_wait_kmcnt 0x0
	v_cmp_lt_u64_e64 s2, s[10:11], 2
	s_delay_alu instid0(VALU_DEP_1)
	s_and_b32 vcc_lo, exec_lo, s2
	s_cbranch_vccnz .LBB0_8
; %bb.1:
	s_load_b64 s[2:3], s[0:1], 0x10
	v_mov_b32_e32 v1, 0
	v_mov_b32_e32 v2, 0
	s_add_nc_u64 s[16:17], s[14:15], 8
	s_add_nc_u64 s[18:19], s[12:13], 8
	s_mov_b64 s[20:21], 1
	s_delay_alu instid0(VALU_DEP_1)
	v_dual_mov_b32 v73, v2 :: v_dual_mov_b32 v72, v1
	s_wait_kmcnt 0x0
	s_add_nc_u64 s[22:23], s[2:3], 8
	s_mov_b32 s3, 0
.LBB0_2:                                ; =>This Inner Loop Header: Depth=1
	s_load_b64 s[24:25], s[22:23], 0x0
                                        ; implicit-def: $vgpr76_vgpr77
	s_mov_b32 s2, exec_lo
	s_wait_kmcnt 0x0
	v_or_b32_e32 v4, s25, v6
	s_delay_alu instid0(VALU_DEP_1)
	v_cmpx_ne_u64_e32 0, v[3:4]
	s_wait_alu 0xfffe
	s_xor_b32 s26, exec_lo, s2
	s_cbranch_execz .LBB0_4
; %bb.3:                                ;   in Loop: Header=BB0_2 Depth=1
	s_cvt_f32_u32 s2, s24
	s_cvt_f32_u32 s27, s25
	s_sub_nc_u64 s[30:31], 0, s[24:25]
	s_wait_alu 0xfffe
	s_delay_alu instid0(SALU_CYCLE_1) | instskip(SKIP_1) | instid1(SALU_CYCLE_2)
	s_fmamk_f32 s2, s27, 0x4f800000, s2
	s_wait_alu 0xfffe
	v_s_rcp_f32 s2, s2
	s_delay_alu instid0(TRANS32_DEP_1) | instskip(SKIP_1) | instid1(SALU_CYCLE_2)
	s_mul_f32 s2, s2, 0x5f7ffffc
	s_wait_alu 0xfffe
	s_mul_f32 s27, s2, 0x2f800000
	s_wait_alu 0xfffe
	s_delay_alu instid0(SALU_CYCLE_2) | instskip(SKIP_1) | instid1(SALU_CYCLE_2)
	s_trunc_f32 s27, s27
	s_wait_alu 0xfffe
	s_fmamk_f32 s2, s27, 0xcf800000, s2
	s_cvt_u32_f32 s29, s27
	s_wait_alu 0xfffe
	s_delay_alu instid0(SALU_CYCLE_1) | instskip(SKIP_1) | instid1(SALU_CYCLE_2)
	s_cvt_u32_f32 s28, s2
	s_wait_alu 0xfffe
	s_mul_u64 s[34:35], s[30:31], s[28:29]
	s_wait_alu 0xfffe
	s_mul_hi_u32 s37, s28, s35
	s_mul_i32 s36, s28, s35
	s_mul_hi_u32 s2, s28, s34
	s_mul_i32 s33, s29, s34
	s_wait_alu 0xfffe
	s_add_nc_u64 s[36:37], s[2:3], s[36:37]
	s_mul_hi_u32 s27, s29, s34
	s_mul_hi_u32 s38, s29, s35
	s_add_co_u32 s2, s36, s33
	s_wait_alu 0xfffe
	s_add_co_ci_u32 s2, s37, s27
	s_mul_i32 s34, s29, s35
	s_add_co_ci_u32 s35, s38, 0
	s_wait_alu 0xfffe
	s_add_nc_u64 s[34:35], s[2:3], s[34:35]
	s_wait_alu 0xfffe
	v_add_co_u32 v4, s2, s28, s34
	s_delay_alu instid0(VALU_DEP_1) | instskip(SKIP_1) | instid1(VALU_DEP_1)
	s_cmp_lg_u32 s2, 0
	s_add_co_ci_u32 s29, s29, s35
	v_readfirstlane_b32 s28, v4
	s_wait_alu 0xfffe
	s_delay_alu instid0(VALU_DEP_1)
	s_mul_u64 s[30:31], s[30:31], s[28:29]
	s_wait_alu 0xfffe
	s_mul_hi_u32 s35, s28, s31
	s_mul_i32 s34, s28, s31
	s_mul_hi_u32 s2, s28, s30
	s_mul_i32 s33, s29, s30
	s_wait_alu 0xfffe
	s_add_nc_u64 s[34:35], s[2:3], s[34:35]
	s_mul_hi_u32 s27, s29, s30
	s_mul_hi_u32 s28, s29, s31
	s_wait_alu 0xfffe
	s_add_co_u32 s2, s34, s33
	s_add_co_ci_u32 s2, s35, s27
	s_mul_i32 s30, s29, s31
	s_add_co_ci_u32 s31, s28, 0
	s_wait_alu 0xfffe
	s_add_nc_u64 s[30:31], s[2:3], s[30:31]
	s_wait_alu 0xfffe
	v_add_co_u32 v4, s2, v4, s30
	s_delay_alu instid0(VALU_DEP_1) | instskip(SKIP_1) | instid1(VALU_DEP_1)
	s_cmp_lg_u32 s2, 0
	s_add_co_ci_u32 s2, s29, s31
	v_mul_hi_u32 v13, v5, v4
	s_wait_alu 0xfffe
	v_mad_co_u64_u32 v[7:8], null, v5, s2, 0
	v_mad_co_u64_u32 v[9:10], null, v6, v4, 0
	;; [unrolled: 1-line block ×3, first 2 shown]
	s_delay_alu instid0(VALU_DEP_3) | instskip(SKIP_1) | instid1(VALU_DEP_4)
	v_add_co_u32 v4, vcc_lo, v13, v7
	s_wait_alu 0xfffd
	v_add_co_ci_u32_e32 v7, vcc_lo, 0, v8, vcc_lo
	s_delay_alu instid0(VALU_DEP_2) | instskip(SKIP_1) | instid1(VALU_DEP_2)
	v_add_co_u32 v4, vcc_lo, v4, v9
	s_wait_alu 0xfffd
	v_add_co_ci_u32_e32 v4, vcc_lo, v7, v10, vcc_lo
	s_wait_alu 0xfffd
	v_add_co_ci_u32_e32 v7, vcc_lo, 0, v12, vcc_lo
	s_delay_alu instid0(VALU_DEP_2) | instskip(SKIP_1) | instid1(VALU_DEP_2)
	v_add_co_u32 v4, vcc_lo, v4, v11
	s_wait_alu 0xfffd
	v_add_co_ci_u32_e32 v9, vcc_lo, 0, v7, vcc_lo
	s_delay_alu instid0(VALU_DEP_2) | instskip(SKIP_1) | instid1(VALU_DEP_3)
	v_mul_lo_u32 v10, s25, v4
	v_mad_co_u64_u32 v[7:8], null, s24, v4, 0
	v_mul_lo_u32 v11, s24, v9
	s_delay_alu instid0(VALU_DEP_2) | instskip(NEXT) | instid1(VALU_DEP_2)
	v_sub_co_u32 v7, vcc_lo, v5, v7
	v_add3_u32 v8, v8, v11, v10
	s_delay_alu instid0(VALU_DEP_1) | instskip(SKIP_1) | instid1(VALU_DEP_1)
	v_sub_nc_u32_e32 v10, v6, v8
	s_wait_alu 0xfffd
	v_subrev_co_ci_u32_e64 v10, s2, s25, v10, vcc_lo
	v_add_co_u32 v11, s2, v4, 2
	s_wait_alu 0xf1ff
	v_add_co_ci_u32_e64 v12, s2, 0, v9, s2
	v_sub_co_u32 v13, s2, v7, s24
	v_sub_co_ci_u32_e32 v8, vcc_lo, v6, v8, vcc_lo
	s_wait_alu 0xf1ff
	v_subrev_co_ci_u32_e64 v10, s2, 0, v10, s2
	s_delay_alu instid0(VALU_DEP_3) | instskip(NEXT) | instid1(VALU_DEP_3)
	v_cmp_le_u32_e32 vcc_lo, s24, v13
	v_cmp_eq_u32_e64 s2, s25, v8
	s_wait_alu 0xfffd
	v_cndmask_b32_e64 v13, 0, -1, vcc_lo
	v_cmp_le_u32_e32 vcc_lo, s25, v10
	s_wait_alu 0xfffd
	v_cndmask_b32_e64 v14, 0, -1, vcc_lo
	v_cmp_le_u32_e32 vcc_lo, s24, v7
	;; [unrolled: 3-line block ×3, first 2 shown]
	s_wait_alu 0xfffd
	v_cndmask_b32_e64 v15, 0, -1, vcc_lo
	v_cmp_eq_u32_e32 vcc_lo, s25, v10
	s_wait_alu 0xf1ff
	s_delay_alu instid0(VALU_DEP_2)
	v_cndmask_b32_e64 v7, v15, v7, s2
	s_wait_alu 0xfffd
	v_cndmask_b32_e32 v10, v14, v13, vcc_lo
	v_add_co_u32 v13, vcc_lo, v4, 1
	s_wait_alu 0xfffd
	v_add_co_ci_u32_e32 v14, vcc_lo, 0, v9, vcc_lo
	s_delay_alu instid0(VALU_DEP_3) | instskip(SKIP_1) | instid1(VALU_DEP_2)
	v_cmp_ne_u32_e32 vcc_lo, 0, v10
	s_wait_alu 0xfffd
	v_cndmask_b32_e32 v8, v14, v12, vcc_lo
	v_cndmask_b32_e32 v10, v13, v11, vcc_lo
	v_cmp_ne_u32_e32 vcc_lo, 0, v7
	s_wait_alu 0xfffd
	s_delay_alu instid0(VALU_DEP_2)
	v_dual_cndmask_b32 v77, v9, v8 :: v_dual_cndmask_b32 v76, v4, v10
.LBB0_4:                                ;   in Loop: Header=BB0_2 Depth=1
	s_wait_alu 0xfffe
	s_and_not1_saveexec_b32 s2, s26
	s_cbranch_execz .LBB0_6
; %bb.5:                                ;   in Loop: Header=BB0_2 Depth=1
	v_cvt_f32_u32_e32 v4, s24
	s_sub_co_i32 s26, 0, s24
	v_mov_b32_e32 v77, v3
	s_delay_alu instid0(VALU_DEP_2) | instskip(NEXT) | instid1(TRANS32_DEP_1)
	v_rcp_iflag_f32_e32 v4, v4
	v_mul_f32_e32 v4, 0x4f7ffffe, v4
	s_delay_alu instid0(VALU_DEP_1) | instskip(SKIP_1) | instid1(VALU_DEP_1)
	v_cvt_u32_f32_e32 v4, v4
	s_wait_alu 0xfffe
	v_mul_lo_u32 v7, s26, v4
	s_delay_alu instid0(VALU_DEP_1) | instskip(NEXT) | instid1(VALU_DEP_1)
	v_mul_hi_u32 v7, v4, v7
	v_add_nc_u32_e32 v4, v4, v7
	s_delay_alu instid0(VALU_DEP_1) | instskip(NEXT) | instid1(VALU_DEP_1)
	v_mul_hi_u32 v4, v5, v4
	v_mul_lo_u32 v7, v4, s24
	v_add_nc_u32_e32 v8, 1, v4
	s_delay_alu instid0(VALU_DEP_2) | instskip(NEXT) | instid1(VALU_DEP_1)
	v_sub_nc_u32_e32 v7, v5, v7
	v_subrev_nc_u32_e32 v9, s24, v7
	v_cmp_le_u32_e32 vcc_lo, s24, v7
	s_wait_alu 0xfffd
	s_delay_alu instid0(VALU_DEP_2) | instskip(NEXT) | instid1(VALU_DEP_1)
	v_dual_cndmask_b32 v7, v7, v9 :: v_dual_cndmask_b32 v4, v4, v8
	v_cmp_le_u32_e32 vcc_lo, s24, v7
	s_delay_alu instid0(VALU_DEP_2) | instskip(SKIP_1) | instid1(VALU_DEP_1)
	v_add_nc_u32_e32 v8, 1, v4
	s_wait_alu 0xfffd
	v_cndmask_b32_e32 v76, v4, v8, vcc_lo
.LBB0_6:                                ;   in Loop: Header=BB0_2 Depth=1
	s_wait_alu 0xfffe
	s_or_b32 exec_lo, exec_lo, s2
	v_mul_lo_u32 v4, v77, s24
	s_delay_alu instid0(VALU_DEP_2)
	v_mul_lo_u32 v9, v76, s25
	s_load_b64 s[26:27], s[18:19], 0x0
	v_mad_co_u64_u32 v[7:8], null, v76, s24, 0
	s_load_b64 s[24:25], s[16:17], 0x0
	s_add_nc_u64 s[20:21], s[20:21], 1
	s_add_nc_u64 s[16:17], s[16:17], 8
	s_wait_alu 0xfffe
	v_cmp_ge_u64_e64 s2, s[20:21], s[10:11]
	s_add_nc_u64 s[18:19], s[18:19], 8
	s_add_nc_u64 s[22:23], s[22:23], 8
	v_add3_u32 v4, v8, v9, v4
	v_sub_co_u32 v5, vcc_lo, v5, v7
	s_wait_alu 0xfffd
	s_delay_alu instid0(VALU_DEP_2) | instskip(SKIP_2) | instid1(VALU_DEP_1)
	v_sub_co_ci_u32_e32 v4, vcc_lo, v6, v4, vcc_lo
	s_and_b32 vcc_lo, exec_lo, s2
	s_wait_kmcnt 0x0
	v_mul_lo_u32 v6, s26, v4
	v_mul_lo_u32 v7, s27, v5
	v_mad_co_u64_u32 v[1:2], null, s26, v5, v[1:2]
	v_mul_lo_u32 v4, s24, v4
	v_mul_lo_u32 v8, s25, v5
	v_mad_co_u64_u32 v[72:73], null, s24, v5, v[72:73]
	s_delay_alu instid0(VALU_DEP_4) | instskip(NEXT) | instid1(VALU_DEP_2)
	v_add3_u32 v2, v7, v2, v6
	v_add3_u32 v73, v8, v73, v4
	s_wait_alu 0xfffe
	s_cbranch_vccnz .LBB0_9
; %bb.7:                                ;   in Loop: Header=BB0_2 Depth=1
	v_dual_mov_b32 v5, v76 :: v_dual_mov_b32 v6, v77
	s_branch .LBB0_2
.LBB0_8:
	v_dual_mov_b32 v73, v2 :: v_dual_mov_b32 v72, v1
	v_dual_mov_b32 v77, v6 :: v_dual_mov_b32 v76, v5
.LBB0_9:
	s_load_b64 s[0:1], s[0:1], 0x28
	v_mul_hi_u32 v3, 0x5050506, v0
                                        ; implicit-def: $vgpr74
	s_wait_kmcnt 0x0
	s_delay_alu instid0(VALU_DEP_2) | instskip(SKIP_1) | instid1(VALU_DEP_1)
	v_cmp_gt_u64_e32 vcc_lo, s[0:1], v[76:77]
	v_cmp_le_u64_e64 s0, s[0:1], v[76:77]
	s_and_saveexec_b32 s1, s0
	s_wait_alu 0xfffe
	s_xor_b32 s0, exec_lo, s1
; %bb.10:
	s_delay_alu instid0(VALU_DEP_3) | instskip(NEXT) | instid1(VALU_DEP_1)
	v_mul_u32_u24_e32 v1, 51, v3
                                        ; implicit-def: $vgpr3
	v_sub_nc_u32_e32 v74, v0, v1
                                        ; implicit-def: $vgpr0
                                        ; implicit-def: $vgpr1_vgpr2
; %bb.11:
	s_wait_alu 0xfffe
	s_or_saveexec_b32 s1, s0
	s_lshl_b64 s[2:3], s[10:11], 3
	s_wait_alu 0xfffe
	s_xor_b32 exec_lo, exec_lo, s1
	s_cbranch_execz .LBB0_13
; %bb.12:
	s_add_nc_u64 s[10:11], s[12:13], s[2:3]
	v_lshlrev_b64_e32 v[1:2], 4, v[1:2]
	s_load_b64 s[10:11], s[10:11], 0x0
	s_wait_kmcnt 0x0
	v_mul_lo_u32 v6, s11, v76
	v_mul_lo_u32 v7, s10, v77
	v_mad_co_u64_u32 v[4:5], null, s10, v76, 0
	s_delay_alu instid0(VALU_DEP_1) | instskip(SKIP_1) | instid1(VALU_DEP_2)
	v_add3_u32 v5, v5, v7, v6
	v_mul_u32_u24_e32 v6, 51, v3
	v_lshlrev_b64_e32 v[3:4], 4, v[4:5]
	s_delay_alu instid0(VALU_DEP_2) | instskip(NEXT) | instid1(VALU_DEP_1)
	v_sub_nc_u32_e32 v74, v0, v6
	v_lshlrev_b32_e32 v64, 4, v74
	s_delay_alu instid0(VALU_DEP_3) | instskip(SKIP_1) | instid1(VALU_DEP_4)
	v_add_co_u32 v0, s0, s4, v3
	s_wait_alu 0xf1ff
	v_add_co_ci_u32_e64 v3, s0, s5, v4, s0
	s_delay_alu instid0(VALU_DEP_2) | instskip(SKIP_1) | instid1(VALU_DEP_2)
	v_add_co_u32 v0, s0, v0, v1
	s_wait_alu 0xf1ff
	v_add_co_ci_u32_e64 v1, s0, v3, v2, s0
	s_delay_alu instid0(VALU_DEP_2) | instskip(SKIP_1) | instid1(VALU_DEP_2)
	v_add_co_u32 v60, s0, v0, v64
	s_wait_alu 0xf1ff
	v_add_co_ci_u32_e64 v61, s0, 0, v1, s0
	s_clause 0xf
	global_load_b128 v[0:3], v[60:61], off
	global_load_b128 v[4:7], v[60:61], off offset:816
	global_load_b128 v[8:11], v[60:61], off offset:1632
	;; [unrolled: 1-line block ×15, first 2 shown]
	v_add_nc_u32_e32 v64, 0, v64
	s_wait_loadcnt 0xf
	ds_store_b128 v64, v[0:3]
	s_wait_loadcnt 0xe
	ds_store_b128 v64, v[4:7] offset:816
	s_wait_loadcnt 0xd
	ds_store_b128 v64, v[8:11] offset:1632
	;; [unrolled: 2-line block ×15, first 2 shown]
.LBB0_13:
	s_or_b32 exec_lo, exec_lo, s1
	v_lshl_add_u32 v174, v74, 4, 0
	global_wb scope:SCOPE_SE
	s_wait_dscnt 0x0
	s_barrier_signal -1
	s_barrier_wait -1
	global_inv scope:SCOPE_SE
	ds_load_b128 v[8:11], v174 offset:12288
	ds_load_b128 v[32:35], v174 offset:768
	ds_load_b128 v[4:7], v174
	ds_load_b128 v[12:15], v174 offset:11520
	ds_load_b128 v[40:43], v174 offset:1536
	s_mov_b32 s22, 0x5d8e7cdc
	s_mov_b32 s4, 0x370991
	s_mov_b32 s23, 0xbfd71e95
	s_mov_b32 s5, 0x3fedd6d0
	ds_load_b128 v[44:47], v174 offset:2304
	ds_load_b128 v[16:19], v174 offset:10752
	s_mov_b32 s20, 0x2a9d6da3
	s_mov_b32 s12, 0x75d4884
	s_mov_b32 s21, 0xbfe58eea
	s_mov_b32 s13, 0x3fe7a5f6
	;; [unrolled: 6-line block ×3, first 2 shown]
	ds_load_b128 v[52:55], v174 offset:3840
	ds_load_b128 v[24:27], v174 offset:9216
	s_mov_b32 s36, 0xeb564b22
	s_mov_b32 s16, 0x3259b75e
	s_wait_dscnt 0x9
	v_add_f64_e64 v[158:159], v[34:35], -v[10:11]
	v_add_f64_e32 v[166:167], v[34:35], v[10:11]
	v_add_f64_e32 v[154:155], v[32:33], v[8:9]
	s_wait_dscnt 0x6
	v_add_f64_e64 v[96:97], v[42:43], -v[14:15]
	v_add_f64_e64 v[170:171], v[32:33], -v[8:9]
	v_add_f64_e32 v[78:79], v[42:43], v[14:15]
	v_add_f64_e32 v[80:81], v[40:41], v[12:13]
	s_wait_dscnt 0x4
	v_add_f64_e64 v[100:101], v[46:47], -v[18:19]
	v_add_f64_e64 v[102:103], v[40:41], -v[12:13]
	v_add_f64_e32 v[82:83], v[46:47], v[18:19]
	v_add_f64_e32 v[84:85], v[44:45], v[16:17]
	v_add_f64_e64 v[116:117], v[44:45], -v[16:17]
	s_wait_dscnt 0x2
	v_add_f64_e64 v[112:113], v[50:51], -v[22:23]
	v_add_f64_e32 v[86:87], v[50:51], v[22:23]
	s_mov_b32 s37, 0xbfefdd0d
	s_mov_b32 s17, 0x3fb79ee6
	v_add_f64_e32 v[88:89], v[48:49], v[20:21]
	v_add_f64_e64 v[118:119], v[48:49], -v[20:21]
	s_wait_dscnt 0x0
	v_add_f64_e64 v[114:115], v[54:55], -v[26:27]
	v_add_f64_e32 v[90:91], v[54:55], v[26:27]
	s_mov_b32 s18, 0xc61f0d01
	s_mov_b32 s42, 0x923c349f
	;; [unrolled: 1-line block ×4, first 2 shown]
	v_add_f64_e32 v[92:93], v[52:53], v[24:25]
	v_add_f64_e64 v[124:125], v[52:53], -v[24:25]
	s_mov_b32 s24, 0x6ed5f1bb
	s_mov_b32 s34, 0x6c9a05f6
	;; [unrolled: 1-line block ×12, first 2 shown]
	v_mul_f64_e32 v[156:157], s[22:23], v[158:159]
	s_wait_alu 0xfffe
	v_mul_f64_e32 v[172:173], s[4:5], v[166:167]
	s_add_nc_u64 s[2:3], s[14:15], s[2:3]
	v_mul_f64_e32 v[134:135], s[20:21], v[96:97]
	s_mov_b32 s33, exec_lo
	v_mul_f64_e32 v[136:137], s[12:13], v[78:79]
	v_mul_f64_e32 v[138:139], s[28:29], v[100:101]
	;; [unrolled: 1-line block ×7, first 2 shown]
	v_fma_f64 v[0:1], v[154:155], s[4:5], -v[156:157]
	v_fma_f64 v[2:3], v[170:171], s[22:23], v[172:173]
	v_fma_f64 v[28:29], v[80:81], s[12:13], -v[134:135]
	v_fma_f64 v[30:31], v[102:103], s[20:21], v[136:137]
	v_fma_f64 v[56:57], v[84:85], s[10:11], -v[138:139]
	v_fma_f64 v[58:59], v[116:117], s[28:29], v[140:141]
	v_fma_f64 v[68:69], v[88:89], s[16:17], -v[142:143]
	v_fma_f64 v[70:71], v[118:119], s[36:37], v[144:145]
	v_fma_f64 v[110:111], v[92:93], s[18:19], -v[146:147]
	v_fma_f64 v[132:133], v[124:125], s[42:43], v[148:149]
	v_add_f64_e32 v[0:1], v[4:5], v[0:1]
	v_add_f64_e32 v[2:3], v[6:7], v[2:3]
	s_delay_alu instid0(VALU_DEP_2) | instskip(NEXT) | instid1(VALU_DEP_2)
	v_add_f64_e32 v[0:1], v[28:29], v[0:1]
	v_add_f64_e32 v[2:3], v[30:31], v[2:3]
	ds_load_b128 v[28:31], v174 offset:8448
	ds_load_b128 v[60:63], v174 offset:4608
	;; [unrolled: 1-line block ×4, first 2 shown]
	s_wait_dscnt 0x2
	v_add_f64_e64 v[120:121], v[62:63], -v[30:31]
	v_add_f64_e32 v[94:95], v[62:63], v[30:31]
	v_add_f64_e32 v[98:99], v[60:61], v[28:29]
	v_add_f64_e64 v[126:127], v[60:61], -v[28:29]
	s_wait_dscnt 0x0
	v_add_f64_e64 v[122:123], v[66:67], -v[38:39]
	v_add_f64_e32 v[104:105], v[66:67], v[38:39]
	v_add_f64_e32 v[106:107], v[64:65], v[36:37]
	v_add_f64_e64 v[130:131], v[64:65], -v[36:37]
	v_add_f64_e32 v[0:1], v[56:57], v[0:1]
	v_add_f64_e32 v[2:3], v[58:59], v[2:3]
	v_mul_f64_e32 v[150:151], s[34:35], v[120:121]
	v_mul_f64_e32 v[152:153], s[24:25], v[94:95]
	;; [unrolled: 1-line block ×4, first 2 shown]
	v_add_f64_e32 v[0:1], v[68:69], v[0:1]
	v_add_f64_e32 v[2:3], v[70:71], v[2:3]
	ds_load_b128 v[68:71], v174 offset:6144
	ds_load_b128 v[56:59], v174 offset:6912
	global_wb scope:SCOPE_SE
	s_wait_dscnt 0x0
	s_barrier_signal -1
	s_barrier_wait -1
	global_inv scope:SCOPE_SE
	v_add_f64_e64 v[128:129], v[70:71], -v[58:59]
	v_add_f64_e32 v[108:109], v[70:71], v[58:59]
	v_fma_f64 v[175:176], v[98:99], s[24:25], -v[150:151]
	v_fma_f64 v[177:178], v[126:127], s[34:35], v[152:153]
	v_fma_f64 v[179:180], v[106:107], s[26:27], -v[160:161]
	v_fma_f64 v[181:182], v[130:131], s[38:39], v[164:165]
	v_add_f64_e32 v[0:1], v[110:111], v[0:1]
	v_add_f64_e32 v[2:3], v[132:133], v[2:3]
	;; [unrolled: 1-line block ×3, first 2 shown]
	v_add_f64_e64 v[132:133], v[68:69], -v[56:57]
	v_mul_f64_e32 v[162:163], s[40:41], v[128:129]
	v_mul_f64_e32 v[168:169], s[30:31], v[108:109]
	v_add_f64_e32 v[0:1], v[175:176], v[0:1]
	v_add_f64_e32 v[2:3], v[177:178], v[2:3]
	s_delay_alu instid0(VALU_DEP_4) | instskip(NEXT) | instid1(VALU_DEP_4)
	v_fma_f64 v[175:176], v[110:111], s[30:31], -v[162:163]
	v_fma_f64 v[177:178], v[132:133], s[40:41], v[168:169]
	s_delay_alu instid0(VALU_DEP_4) | instskip(NEXT) | instid1(VALU_DEP_4)
	v_add_f64_e32 v[0:1], v[179:180], v[0:1]
	v_add_f64_e32 v[2:3], v[181:182], v[2:3]
	s_delay_alu instid0(VALU_DEP_2) | instskip(NEXT) | instid1(VALU_DEP_2)
	v_add_f64_e32 v[0:1], v[175:176], v[0:1]
	v_add_f64_e32 v[2:3], v[177:178], v[2:3]
	v_cmpx_gt_u32_e32 48, v74
	s_cbranch_execz .LBB0_15
; %bb.14:
	v_add_f64_e32 v[32:33], v[4:5], v[32:33]
	v_add_f64_e32 v[34:35], v[6:7], v[34:35]
	s_mov_b32 s47, 0x3fd71e95
	s_mov_b32 s46, s22
	;; [unrolled: 1-line block ×9, first 2 shown]
	v_mul_f64_e32 v[185:186], s[14:15], v[132:133]
	v_mul_f64_e32 v[187:188], s[14:15], v[128:129]
	s_mov_b32 s48, s34
	s_mov_b32 s51, 0x3fe0d888
	;; [unrolled: 1-line block ×5, first 2 shown]
	v_mul_f64_e32 v[189:190], s[22:23], v[126:127]
	v_mul_f64_e32 v[191:192], s[22:23], v[120:121]
	;; [unrolled: 1-line block ×20, first 2 shown]
	v_add_f64_e32 v[32:33], v[32:33], v[40:41]
	v_add_f64_e32 v[34:35], v[34:35], v[42:43]
	v_mul_f64_e32 v[42:43], s[40:41], v[158:159]
	v_mul_f64_e32 v[40:41], s[22:23], v[170:171]
	;; [unrolled: 1-line block ×11, first 2 shown]
	v_add_f64_e32 v[32:33], v[32:33], v[44:45]
	v_add_f64_e32 v[34:35], v[34:35], v[46:47]
	v_mul_f64_e32 v[44:45], s[38:39], v[158:159]
	v_mul_f64_e32 v[46:47], s[34:35], v[158:159]
	v_add_f64_e64 v[40:41], v[172:173], -v[40:41]
	v_add_f64_e32 v[32:33], v[32:33], v[48:49]
	v_add_f64_e32 v[34:35], v[34:35], v[50:51]
	v_mul_f64_e32 v[48:49], s[42:43], v[158:159]
	v_mul_f64_e32 v[50:51], s[36:37], v[158:159]
	s_delay_alu instid0(VALU_DEP_4) | instskip(NEXT) | instid1(VALU_DEP_4)
	v_add_f64_e32 v[32:33], v[32:33], v[52:53]
	v_add_f64_e32 v[34:35], v[34:35], v[54:55]
	v_mul_f64_e32 v[52:53], s[28:29], v[158:159]
	v_mul_f64_e32 v[54:55], s[20:21], v[158:159]
	s_delay_alu instid0(VALU_DEP_4) | instskip(NEXT) | instid1(VALU_DEP_4)
	v_add_f64_e32 v[32:33], v[32:33], v[60:61]
	v_add_f64_e32 v[34:35], v[34:35], v[62:63]
	v_fma_f64 v[60:61], v[154:155], s[24:25], -v[46:47]
	v_fma_f64 v[46:47], v[154:155], s[24:25], v[46:47]
	v_fma_f64 v[62:63], v[154:155], s[18:19], -v[48:49]
	v_fma_f64 v[48:49], v[154:155], s[18:19], v[48:49]
	v_add_f64_e32 v[32:33], v[32:33], v[64:65]
	v_add_f64_e32 v[34:35], v[34:35], v[66:67]
	v_fma_f64 v[64:65], v[154:155], s[16:17], -v[50:51]
	v_fma_f64 v[50:51], v[154:155], s[16:17], v[50:51]
	v_fma_f64 v[66:67], v[154:155], s[10:11], -v[52:53]
	v_fma_f64 v[52:53], v[154:155], s[10:11], v[52:53]
	v_add_f64_e32 v[60:61], v[4:5], v[60:61]
	v_add_f64_e32 v[62:63], v[4:5], v[62:63]
	;; [unrolled: 1-line block ×5, first 2 shown]
	v_mul_f64_e32 v[70:71], s[4:5], v[154:155]
	v_fma_f64 v[68:69], v[154:155], s[12:13], -v[54:55]
	v_fma_f64 v[54:55], v[154:155], s[12:13], v[54:55]
	v_add_f64_e32 v[64:65], v[4:5], v[64:65]
	v_add_f64_e32 v[50:51], v[4:5], v[50:51]
	;; [unrolled: 1-line block ×6, first 2 shown]
	v_fma_f64 v[56:57], v[154:155], s[30:31], -v[42:43]
	v_fma_f64 v[42:43], v[154:155], s[30:31], v[42:43]
	v_fma_f64 v[58:59], v[154:155], s[26:27], -v[44:45]
	v_fma_f64 v[44:45], v[154:155], s[26:27], v[44:45]
	v_add_f64_e32 v[70:71], v[70:71], v[156:157]
	v_add_f64_e32 v[32:33], v[32:33], v[36:37]
	;; [unrolled: 1-line block ×3, first 2 shown]
	v_mul_f64_e32 v[36:37], s[20:21], v[170:171]
	v_add_f64_e32 v[56:57], v[4:5], v[56:57]
	v_add_f64_e32 v[42:43], v[4:5], v[42:43]
	v_add_f64_e32 v[58:59], v[4:5], v[58:59]
	v_add_f64_e32 v[44:45], v[4:5], v[44:45]
	v_add_f64_e32 v[28:29], v[32:33], v[28:29]
	v_add_f64_e32 v[30:31], v[34:35], v[30:31]
	v_mul_f64_e32 v[32:33], s[28:29], v[170:171]
	v_fma_f64 v[38:39], v[166:167], s[12:13], v[36:37]
	v_fma_f64 v[36:37], v[166:167], s[12:13], -v[36:37]
	v_add_f64_e32 v[24:25], v[28:29], v[24:25]
	v_add_f64_e32 v[26:27], v[30:31], v[26:27]
	v_mul_f64_e32 v[28:29], s[36:37], v[170:171]
	v_fma_f64 v[34:35], v[166:167], s[10:11], v[32:33]
	v_fma_f64 v[32:33], v[166:167], s[10:11], -v[32:33]
	v_add_f64_e32 v[20:21], v[24:25], v[20:21]
	v_add_f64_e32 v[22:23], v[26:27], v[22:23]
	;; [unrolled: 5-line block ×3, first 2 shown]
	v_add_f64_e32 v[181:182], v[6:7], v[32:33]
	v_add_f64_e32 v[32:33], v[6:7], v[36:37]
	;; [unrolled: 1-line block ×4, first 2 shown]
	v_mul_f64_e32 v[20:21], s[34:35], v[170:171]
	v_fma_f64 v[26:27], v[166:167], s[18:19], v[24:25]
	v_fma_f64 v[24:25], v[166:167], s[18:19], -v[24:25]
	v_add_f64_e32 v[175:176], v[6:7], v[30:31]
	v_add_f64_e32 v[30:31], v[4:5], v[70:71]
	;; [unrolled: 1-line block ×6, first 2 shown]
	v_mul_f64_e32 v[16:17], s[38:39], v[170:171]
	v_fma_f64 v[22:23], v[166:167], s[24:25], v[20:21]
	v_fma_f64 v[20:21], v[166:167], s[24:25], -v[20:21]
	v_add_f64_e32 v[172:173], v[6:7], v[26:27]
	v_add_f64_e32 v[8:9], v[12:13], v[8:9]
	v_mul_f64_e32 v[12:13], s[40:41], v[170:171]
	v_add_f64_e32 v[10:11], v[14:15], v[10:11]
	v_fma_f64 v[18:19], v[166:167], s[26:27], v[16:17]
	v_fma_f64 v[16:17], v[166:167], s[26:27], -v[16:17]
	v_add_f64_e32 v[158:159], v[6:7], v[22:23]
	v_add_f64_e32 v[170:171], v[4:5], v[46:47]
	v_mul_f64_e32 v[22:23], s[38:39], v[116:117]
	v_add_f64_e32 v[46:47], v[6:7], v[24:25]
	v_fma_f64 v[14:15], v[166:167], s[30:31], v[12:13]
	v_fma_f64 v[12:13], v[166:167], s[30:31], -v[12:13]
	v_add_f64_e32 v[166:167], v[6:7], v[20:21]
	v_mul_f64_e32 v[20:21], s[46:47], v[102:103]
	v_add_f64_e32 v[156:157], v[6:7], v[16:17]
	v_add_f64_e32 v[16:17], v[4:5], v[68:69]
	v_fma_f64 v[24:25], v[82:83], s[26:27], v[22:23]
	v_add_f64_e32 v[154:155], v[6:7], v[18:19]
	v_add_f64_e32 v[18:19], v[6:7], v[38:39]
	v_add_f64_e32 v[14:15], v[6:7], v[14:15]
	v_add_f64_e32 v[12:13], v[6:7], v[12:13]
	v_fma_f64 v[4:5], v[78:79], s[4:5], v[20:21]
	v_fma_f64 v[20:21], v[78:79], s[4:5], -v[20:21]
	s_delay_alu instid0(VALU_DEP_2) | instskip(SKIP_1) | instid1(VALU_DEP_3)
	v_add_f64_e32 v[4:5], v[4:5], v[14:15]
	v_mul_f64_e32 v[14:15], s[46:47], v[96:97]
	v_add_f64_e32 v[12:13], v[20:21], v[12:13]
	v_fma_f64 v[20:21], v[82:83], s[26:27], -v[22:23]
	v_fma_f64 v[22:23], v[110:111], s[16:17], v[187:188]
	v_add_f64_e32 v[4:5], v[24:25], v[4:5]
	v_fma_f64 v[6:7], v[80:81], s[4:5], -v[14:15]
	v_mul_f64_e32 v[24:25], s[38:39], v[100:101]
	v_fma_f64 v[14:15], v[80:81], s[4:5], v[14:15]
	v_add_f64_e32 v[12:13], v[20:21], v[12:13]
	s_delay_alu instid0(VALU_DEP_4) | instskip(NEXT) | instid1(VALU_DEP_4)
	v_add_f64_e32 v[6:7], v[6:7], v[56:57]
	v_fma_f64 v[26:27], v[84:85], s[26:27], -v[24:25]
	s_delay_alu instid0(VALU_DEP_4) | instskip(SKIP_3) | instid1(VALU_DEP_4)
	v_add_f64_e32 v[14:15], v[14:15], v[42:43]
	v_fma_f64 v[20:21], v[84:85], s[26:27], v[24:25]
	s_wait_alu 0xfffe
	v_mul_f64_e32 v[24:25], s[0:1], v[102:103]
	v_add_f64_e32 v[6:7], v[26:27], v[6:7]
	v_mul_f64_e32 v[26:27], s[44:45], v[118:119]
	s_delay_alu instid0(VALU_DEP_4) | instskip(NEXT) | instid1(VALU_DEP_2)
	v_add_f64_e32 v[14:15], v[20:21], v[14:15]
	v_fma_f64 v[36:37], v[86:87], s[12:13], v[26:27]
	v_fma_f64 v[20:21], v[86:87], s[12:13], -v[26:27]
	v_mul_f64_e32 v[26:27], s[0:1], v[96:97]
	s_delay_alu instid0(VALU_DEP_3) | instskip(SKIP_1) | instid1(VALU_DEP_4)
	v_add_f64_e32 v[4:5], v[36:37], v[4:5]
	v_mul_f64_e32 v[36:37], s[44:45], v[112:113]
	v_add_f64_e32 v[12:13], v[20:21], v[12:13]
	s_delay_alu instid0(VALU_DEP_2) | instskip(SKIP_2) | instid1(VALU_DEP_3)
	v_fma_f64 v[38:39], v[88:89], s[12:13], -v[36:37]
	v_fma_f64 v[20:21], v[88:89], s[12:13], v[36:37]
	v_mul_f64_e32 v[36:37], s[36:37], v[116:117]
	v_add_f64_e32 v[6:7], v[38:39], v[6:7]
	v_mul_f64_e32 v[38:39], s[34:35], v[124:125]
	s_delay_alu instid0(VALU_DEP_4) | instskip(NEXT) | instid1(VALU_DEP_2)
	v_add_f64_e32 v[14:15], v[20:21], v[14:15]
	v_fma_f64 v[40:41], v[90:91], s[24:25], v[38:39]
	v_fma_f64 v[20:21], v[90:91], s[24:25], -v[38:39]
	v_fma_f64 v[38:39], v[82:83], s[16:17], v[36:37]
	v_fma_f64 v[36:37], v[82:83], s[16:17], -v[36:37]
	s_delay_alu instid0(VALU_DEP_4) | instskip(SKIP_2) | instid1(VALU_DEP_2)
	v_add_f64_e32 v[4:5], v[40:41], v[4:5]
	v_mul_f64_e32 v[40:41], s[34:35], v[114:115]
	v_add_f64_e32 v[12:13], v[20:21], v[12:13]
	v_fma_f64 v[54:55], v[92:93], s[24:25], -v[40:41]
	v_fma_f64 v[20:21], v[92:93], s[24:25], v[40:41]
	s_delay_alu instid0(VALU_DEP_2) | instskip(SKIP_1) | instid1(VALU_DEP_3)
	v_add_f64_e32 v[6:7], v[54:55], v[6:7]
	v_mul_f64_e32 v[54:55], s[0:1], v[126:127]
	v_add_f64_e32 v[14:15], v[20:21], v[14:15]
	s_delay_alu instid0(VALU_DEP_2) | instskip(SKIP_1) | instid1(VALU_DEP_2)
	v_fma_f64 v[56:57], v[94:95], s[10:11], v[54:55]
	v_fma_f64 v[20:21], v[94:95], s[10:11], -v[54:55]
	v_add_f64_e32 v[4:5], v[56:57], v[4:5]
	v_mul_f64_e32 v[56:57], s[0:1], v[120:121]
	s_delay_alu instid0(VALU_DEP_3) | instskip(NEXT) | instid1(VALU_DEP_2)
	v_add_f64_e32 v[12:13], v[20:21], v[12:13]
	v_fma_f64 v[68:69], v[98:99], s[10:11], -v[56:57]
	v_fma_f64 v[20:21], v[98:99], s[10:11], v[56:57]
	s_delay_alu instid0(VALU_DEP_2) | instskip(SKIP_1) | instid1(VALU_DEP_3)
	v_add_f64_e32 v[6:7], v[68:69], v[6:7]
	v_mul_f64_e32 v[68:69], s[42:43], v[130:131]
	v_add_f64_e32 v[14:15], v[20:21], v[14:15]
	s_delay_alu instid0(VALU_DEP_2) | instskip(SKIP_1) | instid1(VALU_DEP_2)
	v_fma_f64 v[70:71], v[104:105], s[18:19], v[68:69]
	v_fma_f64 v[20:21], v[104:105], s[18:19], -v[68:69]
	v_add_f64_e32 v[4:5], v[70:71], v[4:5]
	v_mul_f64_e32 v[70:71], s[42:43], v[122:123]
	s_delay_alu instid0(VALU_DEP_3) | instskip(NEXT) | instid1(VALU_DEP_2)
	v_add_f64_e32 v[12:13], v[20:21], v[12:13]
	v_fma_f64 v[20:21], v[106:107], s[18:19], v[70:71]
	v_fma_f64 v[183:184], v[106:107], s[18:19], -v[70:71]
	s_delay_alu instid0(VALU_DEP_2) | instskip(SKIP_1) | instid1(VALU_DEP_3)
	v_add_f64_e32 v[20:21], v[20:21], v[14:15]
	v_fma_f64 v[14:15], v[108:109], s[16:17], -v[185:186]
	v_add_f64_e32 v[183:184], v[183:184], v[6:7]
	v_fma_f64 v[6:7], v[108:109], s[16:17], v[185:186]
	v_mul_f64_e32 v[185:186], s[42:43], v[132:133]
	s_delay_alu instid0(VALU_DEP_4)
	v_add_f64_e32 v[14:15], v[14:15], v[12:13]
	v_add_f64_e32 v[12:13], v[22:23], v[20:21]
	v_fma_f64 v[20:21], v[78:79], s[10:11], v[24:25]
	v_fma_f64 v[22:23], v[80:81], s[10:11], -v[26:27]
	v_fma_f64 v[24:25], v[78:79], s[10:11], -v[24:25]
	v_fma_f64 v[26:27], v[80:81], s[10:11], v[26:27]
	v_add_f64_e32 v[6:7], v[6:7], v[4:5]
	v_fma_f64 v[4:5], v[110:111], s[16:17], -v[187:188]
	v_mul_f64_e32 v[187:188], s[42:43], v[128:129]
	v_add_f64_e32 v[20:21], v[20:21], v[154:155]
	v_add_f64_e32 v[22:23], v[22:23], v[58:59]
	;; [unrolled: 1-line block ×4, first 2 shown]
	v_mul_f64_e32 v[44:45], s[10:11], v[84:85]
	v_add_f64_e32 v[4:5], v[4:5], v[183:184]
	v_mul_f64_e32 v[156:157], s[46:47], v[128:129]
	v_mul_f64_e32 v[128:129], s[0:1], v[128:129]
	v_add_f64_e32 v[20:21], v[38:39], v[20:21]
	v_mul_f64_e32 v[38:39], s[36:37], v[100:101]
	v_add_f64_e32 v[24:25], v[36:37], v[24:25]
	v_add_f64_e32 v[44:45], v[44:45], v[138:139]
	v_mul_f64_e32 v[138:139], s[40:41], v[118:119]
	s_delay_alu instid0(VALU_DEP_4) | instskip(SKIP_2) | instid1(VALU_DEP_3)
	v_fma_f64 v[40:41], v[84:85], s[16:17], -v[38:39]
	v_fma_f64 v[36:37], v[84:85], s[16:17], v[38:39]
	v_fma_f64 v[38:39], v[110:111], s[18:19], v[187:188]
	v_add_f64_e32 v[22:23], v[40:41], v[22:23]
	v_mul_f64_e32 v[40:41], s[48:49], v[118:119]
	s_delay_alu instid0(VALU_DEP_4) | instskip(NEXT) | instid1(VALU_DEP_2)
	v_add_f64_e32 v[26:27], v[36:37], v[26:27]
	v_fma_f64 v[42:43], v[86:87], s[24:25], v[40:41]
	v_fma_f64 v[36:37], v[86:87], s[24:25], -v[40:41]
	v_mul_f64_e32 v[40:41], s[20:21], v[102:103]
	s_delay_alu instid0(VALU_DEP_3) | instskip(SKIP_1) | instid1(VALU_DEP_4)
	v_add_f64_e32 v[20:21], v[42:43], v[20:21]
	v_mul_f64_e32 v[42:43], s[48:49], v[112:113]
	v_add_f64_e32 v[24:25], v[36:37], v[24:25]
	s_delay_alu instid0(VALU_DEP_4) | instskip(SKIP_1) | instid1(VALU_DEP_4)
	v_add_f64_e64 v[40:41], v[136:137], -v[40:41]
	v_mul_f64_e32 v[136:137], s[34:35], v[100:101]
	v_fma_f64 v[54:55], v[88:89], s[24:25], -v[42:43]
	v_fma_f64 v[36:37], v[88:89], s[24:25], v[42:43]
	v_mul_f64_e32 v[42:43], s[16:17], v[88:89]
	v_add_f64_e32 v[28:29], v[40:41], v[28:29]
	v_mul_f64_e32 v[40:41], s[24:25], v[98:99]
	v_add_f64_e32 v[22:23], v[54:55], v[22:23]
	;; [unrolled: 2-line block ×3, first 2 shown]
	v_add_f64_e32 v[42:43], v[42:43], v[142:143]
	v_add_f64_e32 v[40:41], v[40:41], v[150:151]
	v_mul_f64_e32 v[142:143], s[50:51], v[124:125]
	v_mul_f64_e32 v[150:151], s[0:1], v[130:131]
	v_fma_f64 v[56:57], v[90:91], s[4:5], v[54:55]
	v_fma_f64 v[36:37], v[90:91], s[4:5], -v[54:55]
	v_mul_f64_e32 v[54:55], s[12:13], v[80:81]
	s_delay_alu instid0(VALU_DEP_3) | instskip(SKIP_1) | instid1(VALU_DEP_4)
	v_add_f64_e32 v[20:21], v[56:57], v[20:21]
	v_mul_f64_e32 v[56:57], s[22:23], v[114:115]
	v_add_f64_e32 v[24:25], v[36:37], v[24:25]
	s_delay_alu instid0(VALU_DEP_4) | instskip(SKIP_1) | instid1(VALU_DEP_4)
	v_add_f64_e32 v[54:55], v[54:55], v[134:135]
	v_mul_f64_e32 v[134:135], s[34:35], v[116:117]
	v_fma_f64 v[58:59], v[92:93], s[4:5], -v[56:57]
	v_fma_f64 v[36:37], v[92:93], s[4:5], v[56:57]
	s_delay_alu instid0(VALU_DEP_4)
	v_add_f64_e32 v[30:31], v[54:55], v[30:31]
	v_mul_f64_e32 v[56:57], s[42:43], v[124:125]
	s_mov_b32 s43, 0x3feec746
	s_wait_alu 0xfffe
	v_mul_f64_e32 v[203:204], s[42:43], v[116:117]
	v_mul_f64_e32 v[205:206], s[42:43], v[100:101]
	;; [unrolled: 1-line block ×3, first 2 shown]
	v_add_f64_e32 v[22:23], v[58:59], v[22:23]
	v_mul_f64_e32 v[58:59], s[40:41], v[126:127]
	v_add_f64_e32 v[26:27], v[36:37], v[26:27]
	v_add_f64_e32 v[30:31], v[44:45], v[30:31]
	v_add_f64_e64 v[56:57], v[148:149], -v[56:57]
	v_mul_f64_e32 v[148:149], s[42:43], v[120:121]
	v_fma_f64 v[44:45], v[82:83], s[18:19], -v[203:204]
	v_fma_f64 v[68:69], v[94:95], s[30:31], v[58:59]
	v_fma_f64 v[36:37], v[94:95], s[30:31], -v[58:59]
	v_mul_f64_e32 v[58:59], s[18:19], v[92:93]
	v_add_f64_e32 v[30:31], v[42:43], v[30:31]
	v_mul_f64_e32 v[42:43], s[40:41], v[132:133]
	v_add_f64_e32 v[20:21], v[68:69], v[20:21]
	;; [unrolled: 2-line block ×3, first 2 shown]
	v_add_f64_e32 v[58:59], v[58:59], v[146:147]
	v_add_f64_e64 v[42:43], v[168:169], -v[42:43]
	v_mul_f64_e32 v[146:147], s[42:43], v[126:127]
	v_mul_f64_e32 v[168:169], s[52:53], v[100:101]
	;; [unrolled: 1-line block ×4, first 2 shown]
	v_fma_f64 v[70:71], v[98:99], s[30:31], -v[68:69]
	v_fma_f64 v[36:37], v[98:99], s[30:31], v[68:69]
	v_mul_f64_e32 v[68:69], s[34:35], v[126:127]
	v_add_f64_e32 v[30:31], v[58:59], v[30:31]
	v_mul_f64_e32 v[58:59], s[50:51], v[96:97]
	v_add_f64_e32 v[22:23], v[70:71], v[22:23]
	;; [unrolled: 2-line block ×3, first 2 shown]
	v_add_f64_e64 v[68:69], v[152:153], -v[68:69]
	v_add_f64_e32 v[30:31], v[40:41], v[30:31]
	v_mul_f64_e32 v[40:41], s[30:31], v[110:111]
	v_mul_f64_e32 v[152:153], s[0:1], v[122:123]
	v_fma_f64 v[154:155], v[104:105], s[12:13], v[70:71]
	v_fma_f64 v[36:37], v[104:105], s[12:13], -v[70:71]
	v_mul_f64_e32 v[70:71], s[36:37], v[96:97]
	v_add_f64_e32 v[40:41], v[40:41], v[162:163]
	v_mul_f64_e32 v[162:163], s[34:35], v[96:97]
	v_add_f64_e32 v[20:21], v[154:155], v[20:21]
	;; [unrolled: 2-line block ×3, first 2 shown]
	v_mul_f64_e32 v[122:123], s[40:41], v[122:123]
	s_delay_alu instid0(VALU_DEP_3) | instskip(SKIP_2) | instid1(VALU_DEP_3)
	v_fma_f64 v[36:37], v[106:107], s[12:13], v[154:155]
	v_fma_f64 v[183:184], v[106:107], s[12:13], -v[154:155]
	v_mul_f64_e32 v[154:155], s[46:47], v[132:133]
	v_add_f64_e32 v[36:37], v[36:37], v[26:27]
	v_fma_f64 v[26:27], v[108:109], s[18:19], -v[185:186]
	s_delay_alu instid0(VALU_DEP_4) | instskip(SKIP_2) | instid1(VALU_DEP_4)
	v_add_f64_e32 v[183:184], v[183:184], v[22:23]
	v_fma_f64 v[22:23], v[108:109], s[18:19], v[185:186]
	v_mul_f64_e32 v[185:186], s[44:45], v[124:125]
	v_add_f64_e32 v[26:27], v[26:27], v[24:25]
	v_add_f64_e32 v[24:25], v[38:39], v[36:37]
	v_mul_f64_e32 v[38:39], s[28:29], v[116:117]
	v_mul_f64_e32 v[36:37], s[36:37], v[118:119]
	v_add_f64_e32 v[22:23], v[22:23], v[20:21]
	v_fma_f64 v[20:21], v[110:111], s[18:19], -v[187:188]
	v_mul_f64_e32 v[187:188], s[44:45], v[114:115]
	v_add_f64_e64 v[38:39], v[140:141], -v[38:39]
	v_add_f64_e64 v[36:37], v[144:145], -v[36:37]
	v_mul_f64_e32 v[140:141], s[40:41], v[112:113]
	v_mul_f64_e32 v[144:145], s[50:51], v[114:115]
	v_add_f64_e32 v[20:21], v[20:21], v[183:184]
	v_mul_f64_e32 v[183:184], s[42:43], v[112:113]
	v_mul_f64_e32 v[112:113], s[38:39], v[112:113]
	;; [unrolled: 1-line block ×3, first 2 shown]
	v_add_f64_e32 v[28:29], v[38:39], v[28:29]
	v_mul_f64_e32 v[38:39], s[38:39], v[130:131]
	s_delay_alu instid0(VALU_DEP_2) | instskip(SKIP_1) | instid1(VALU_DEP_3)
	v_add_f64_e32 v[28:29], v[36:37], v[28:29]
	v_mul_f64_e32 v[36:37], s[26:27], v[106:107]
	v_add_f64_e64 v[38:39], v[164:165], -v[38:39]
	v_mul_f64_e32 v[164:165], s[52:53], v[116:117]
	s_delay_alu instid0(VALU_DEP_4) | instskip(NEXT) | instid1(VALU_DEP_4)
	v_add_f64_e32 v[28:29], v[56:57], v[28:29]
	v_add_f64_e32 v[36:37], v[36:37], v[160:161]
	v_mul_f64_e32 v[160:161], s[34:35], v[102:103]
	v_mul_f64_e32 v[56:57], s[50:51], v[102:103]
	s_delay_alu instid0(VALU_DEP_4) | instskip(NEXT) | instid1(VALU_DEP_4)
	v_add_f64_e32 v[28:29], v[68:69], v[28:29]
	v_add_f64_e32 v[36:37], v[36:37], v[30:31]
	v_mul_f64_e32 v[68:69], s[36:37], v[102:103]
	s_delay_alu instid0(VALU_DEP_3) | instskip(SKIP_1) | instid1(VALU_DEP_2)
	v_add_f64_e32 v[28:29], v[38:39], v[28:29]
	v_fma_f64 v[38:39], v[80:81], s[24:25], v[162:163]
	v_add_f64_e32 v[30:31], v[42:43], v[28:29]
	v_add_f64_e32 v[28:29], v[40:41], v[36:37]
	v_fma_f64 v[36:37], v[78:79], s[16:17], -v[68:69]
	v_fma_f64 v[40:41], v[82:83], s[30:31], -v[164:165]
	v_add_f64_e32 v[38:39], v[38:39], v[52:53]
	v_mul_f64_e32 v[52:53], s[42:43], v[102:103]
	v_fma_f64 v[68:69], v[78:79], s[16:17], v[68:69]
	v_add_f64_e32 v[32:33], v[36:37], v[32:33]
	v_fma_f64 v[36:37], v[80:81], s[16:17], v[70:71]
	v_fma_f64 v[70:71], v[80:81], s[16:17], -v[70:71]
	s_delay_alu instid0(VALU_DEP_4) | instskip(SKIP_1) | instid1(VALU_DEP_4)
	v_add_f64_e32 v[18:19], v[68:69], v[18:19]
	v_fma_f64 v[68:69], v[84:85], s[24:25], -v[136:137]
	v_add_f64_e32 v[34:35], v[36:37], v[34:35]
	v_fma_f64 v[36:37], v[82:83], s[24:25], -v[134:135]
	v_add_f64_e32 v[16:17], v[70:71], v[16:17]
	v_fma_f64 v[70:71], v[86:87], s[30:31], v[138:139]
	s_delay_alu instid0(VALU_DEP_3) | instskip(SKIP_1) | instid1(VALU_DEP_4)
	v_add_f64_e32 v[32:33], v[36:37], v[32:33]
	v_fma_f64 v[36:37], v[84:85], s[24:25], v[136:137]
	v_add_f64_e32 v[16:17], v[68:69], v[16:17]
	v_fma_f64 v[68:69], v[90:91], s[26:27], v[142:143]
	s_delay_alu instid0(VALU_DEP_3) | instskip(SKIP_1) | instid1(VALU_DEP_1)
	v_add_f64_e32 v[34:35], v[36:37], v[34:35]
	v_fma_f64 v[36:37], v[86:87], s[30:31], -v[138:139]
	v_add_f64_e32 v[32:33], v[36:37], v[32:33]
	v_fma_f64 v[36:37], v[88:89], s[30:31], v[140:141]
	s_delay_alu instid0(VALU_DEP_1) | instskip(SKIP_1) | instid1(VALU_DEP_1)
	v_add_f64_e32 v[34:35], v[36:37], v[34:35]
	v_fma_f64 v[36:37], v[90:91], s[26:27], -v[142:143]
	v_add_f64_e32 v[32:33], v[36:37], v[32:33]
	v_fma_f64 v[36:37], v[92:93], s[26:27], v[144:145]
	s_delay_alu instid0(VALU_DEP_1) | instskip(SKIP_1) | instid1(VALU_DEP_1)
	;; [unrolled: 5-line block ×5, first 2 shown]
	v_add_f64_e32 v[32:33], v[32:33], v[36:37]
	v_fma_f64 v[36:37], v[78:79], s[24:25], -v[160:161]
	v_add_f64_e32 v[36:37], v[36:37], v[181:182]
	v_mul_f64_e32 v[181:182], s[42:43], v[118:119]
	s_delay_alu instid0(VALU_DEP_2) | instskip(SKIP_1) | instid1(VALU_DEP_1)
	v_add_f64_e32 v[36:37], v[40:41], v[36:37]
	v_fma_f64 v[40:41], v[84:85], s[30:31], v[168:169]
	v_add_f64_e32 v[38:39], v[40:41], v[38:39]
	s_delay_alu instid0(VALU_DEP_4) | instskip(NEXT) | instid1(VALU_DEP_1)
	v_fma_f64 v[40:41], v[86:87], s[18:19], -v[181:182]
	v_add_f64_e32 v[36:37], v[40:41], v[36:37]
	v_fma_f64 v[40:41], v[88:89], s[18:19], v[183:184]
	s_delay_alu instid0(VALU_DEP_1) | instskip(SKIP_1) | instid1(VALU_DEP_1)
	v_add_f64_e32 v[38:39], v[40:41], v[38:39]
	v_fma_f64 v[40:41], v[90:91], s[12:13], -v[185:186]
	v_add_f64_e32 v[36:37], v[40:41], v[36:37]
	v_fma_f64 v[40:41], v[92:93], s[12:13], v[187:188]
	s_delay_alu instid0(VALU_DEP_1) | instskip(SKIP_1) | instid1(VALU_DEP_1)
	v_add_f64_e32 v[38:39], v[40:41], v[38:39]
	;; [unrolled: 5-line block ×5, first 2 shown]
	v_fma_f64 v[40:41], v[78:79], s[30:31], -v[201:202]
	v_add_f64_e32 v[40:41], v[40:41], v[177:178]
	v_mul_f64_e32 v[177:178], s[40:41], v[96:97]
	v_mul_f64_e32 v[96:97], s[22:23], v[116:117]
	s_delay_alu instid0(VALU_DEP_3) | instskip(NEXT) | instid1(VALU_DEP_3)
	v_add_f64_e32 v[40:41], v[44:45], v[40:41]
	v_fma_f64 v[42:43], v[80:81], s[30:31], v[177:178]
	v_fma_f64 v[44:45], v[84:85], s[18:19], v[205:206]
	s_delay_alu instid0(VALU_DEP_4) | instskip(NEXT) | instid1(VALU_DEP_3)
	v_fma_f64 v[102:103], v[82:83], s[4:5], -v[96:97]
	v_add_f64_e32 v[42:43], v[42:43], v[50:51]
	v_fma_f64 v[50:51], v[80:81], s[18:19], v[54:55]
	v_fma_f64 v[54:55], v[80:81], s[18:19], -v[54:55]
	s_delay_alu instid0(VALU_DEP_3) | instskip(SKIP_1) | instid1(VALU_DEP_4)
	v_add_f64_e32 v[42:43], v[44:45], v[42:43]
	v_fma_f64 v[44:45], v[86:87], s[4:5], -v[207:208]
	v_add_f64_e32 v[50:51], v[50:51], v[170:171]
	s_delay_alu instid0(VALU_DEP_4) | instskip(SKIP_4) | instid1(VALU_DEP_1)
	v_add_f64_e32 v[54:55], v[54:55], v[60:61]
	v_fma_f64 v[60:61], v[82:83], s[4:5], v[96:97]
	v_fma_f64 v[96:97], v[110:111], s[10:11], -v[128:129]
	v_add_f64_e32 v[40:41], v[44:45], v[40:41]
	v_fma_f64 v[44:45], v[88:89], s[4:5], v[209:210]
	v_add_f64_e32 v[42:43], v[44:45], v[42:43]
	v_fma_f64 v[44:45], v[90:91], s[10:11], -v[211:212]
	s_delay_alu instid0(VALU_DEP_1) | instskip(SKIP_1) | instid1(VALU_DEP_1)
	v_add_f64_e32 v[40:41], v[44:45], v[40:41]
	v_fma_f64 v[44:45], v[92:93], s[10:11], v[213:214]
	v_add_f64_e32 v[42:43], v[44:45], v[42:43]
	v_fma_f64 v[44:45], v[94:95], s[26:27], -v[215:216]
	s_delay_alu instid0(VALU_DEP_1) | instskip(SKIP_1) | instid1(VALU_DEP_1)
	;; [unrolled: 5-line block ×4, first 2 shown]
	v_add_f64_e32 v[42:43], v[42:43], v[40:41]
	v_fma_f64 v[40:41], v[110:111], s[12:13], v[225:226]
	v_add_f64_e32 v[40:41], v[40:41], v[44:45]
	v_fma_f64 v[44:45], v[78:79], s[26:27], -v[56:57]
	v_fma_f64 v[56:57], v[78:79], s[26:27], v[56:57]
	s_delay_alu instid0(VALU_DEP_2) | instskip(SKIP_1) | instid1(VALU_DEP_3)
	v_add_f64_e32 v[44:45], v[44:45], v[46:47]
	v_fma_f64 v[46:47], v[80:81], s[26:27], v[58:59]
	v_add_f64_e32 v[56:57], v[56:57], v[172:173]
	v_fma_f64 v[58:59], v[80:81], s[26:27], -v[58:59]
	s_delay_alu instid0(VALU_DEP_3) | instskip(SKIP_1) | instid1(VALU_DEP_3)
	v_add_f64_e32 v[46:47], v[46:47], v[48:49]
	v_fma_f64 v[48:49], v[82:83], s[12:13], -v[227:228]
	v_add_f64_e32 v[58:59], v[58:59], v[62:63]
	v_fma_f64 v[62:63], v[110:111], s[24:25], -v[249:250]
	s_delay_alu instid0(VALU_DEP_3) | instskip(SKIP_1) | instid1(VALU_DEP_1)
	v_add_f64_e32 v[44:45], v[48:49], v[44:45]
	v_fma_f64 v[48:49], v[84:85], s[12:13], v[229:230]
	v_add_f64_e32 v[46:47], v[48:49], v[46:47]
	v_fma_f64 v[48:49], v[86:87], s[10:11], -v[231:232]
	s_delay_alu instid0(VALU_DEP_1) | instskip(SKIP_1) | instid1(VALU_DEP_1)
	v_add_f64_e32 v[44:45], v[48:49], v[44:45]
	v_fma_f64 v[48:49], v[88:89], s[10:11], v[233:234]
	v_add_f64_e32 v[46:47], v[48:49], v[46:47]
	v_fma_f64 v[48:49], v[90:91], s[30:31], -v[235:236]
	s_delay_alu instid0(VALU_DEP_1) | instskip(SKIP_1) | instid1(VALU_DEP_1)
	v_add_f64_e32 v[44:45], v[48:49], v[44:45]
	v_fma_f64 v[48:49], v[92:93], s[30:31], v[237:238]
	v_add_f64_e32 v[46:47], v[48:49], v[46:47]
	v_fma_f64 v[48:49], v[94:95], s[16:17], -v[239:240]
	s_delay_alu instid0(VALU_DEP_1) | instskip(SKIP_1) | instid1(VALU_DEP_1)
	v_add_f64_e32 v[44:45], v[48:49], v[44:45]
	v_fma_f64 v[48:49], v[98:99], s[16:17], v[241:242]
	v_add_f64_e32 v[46:47], v[48:49], v[46:47]
	v_fma_f64 v[48:49], v[104:105], s[4:5], -v[243:244]
	s_delay_alu instid0(VALU_DEP_1) | instskip(SKIP_1) | instid1(VALU_DEP_1)
	v_add_f64_e32 v[44:45], v[48:49], v[44:45]
	v_fma_f64 v[48:49], v[106:107], s[4:5], v[245:246]
	v_add_f64_e32 v[48:49], v[48:49], v[46:47]
	v_fma_f64 v[46:47], v[108:109], s[24:25], -v[247:248]
	s_delay_alu instid0(VALU_DEP_1) | instskip(SKIP_1) | instid1(VALU_DEP_1)
	v_add_f64_e32 v[46:47], v[46:47], v[44:45]
	v_fma_f64 v[44:45], v[110:111], s[24:25], v[249:250]
	v_add_f64_e32 v[44:45], v[44:45], v[48:49]
	v_fma_f64 v[48:49], v[78:79], s[18:19], -v[52:53]
	v_fma_f64 v[52:53], v[78:79], s[18:19], v[52:53]
	s_delay_alu instid0(VALU_DEP_2) | instskip(NEXT) | instid1(VALU_DEP_2)
	v_add_f64_e32 v[48:49], v[48:49], v[166:167]
	v_add_f64_e32 v[52:53], v[52:53], v[158:159]
	s_delay_alu instid0(VALU_DEP_2) | instskip(SKIP_1) | instid1(VALU_DEP_3)
	v_add_f64_e32 v[48:49], v[102:103], v[48:49]
	v_fma_f64 v[102:103], v[84:85], s[4:5], v[100:101]
	v_add_f64_e32 v[52:53], v[60:61], v[52:53]
	v_fma_f64 v[60:61], v[84:85], s[4:5], -v[100:101]
	v_fma_f64 v[100:101], v[110:111], s[26:27], -v[199:200]
	s_delay_alu instid0(VALU_DEP_4) | instskip(SKIP_1) | instid1(VALU_DEP_4)
	v_add_f64_e32 v[50:51], v[102:103], v[50:51]
	v_mul_f64_e32 v[102:103], s[38:39], v[118:119]
	v_add_f64_e32 v[54:55], v[60:61], v[54:55]
	s_delay_alu instid0(VALU_DEP_2) | instskip(SKIP_1) | instid1(VALU_DEP_2)
	v_fma_f64 v[116:117], v[86:87], s[26:27], -v[102:103]
	v_fma_f64 v[60:61], v[86:87], s[26:27], v[102:103]
	v_add_f64_e32 v[48:49], v[116:117], v[48:49]
	v_fma_f64 v[116:117], v[88:89], s[26:27], v[112:113]
	s_delay_alu instid0(VALU_DEP_3) | instskip(SKIP_1) | instid1(VALU_DEP_3)
	v_add_f64_e32 v[52:53], v[60:61], v[52:53]
	v_fma_f64 v[60:61], v[88:89], s[26:27], -v[112:113]
	v_add_f64_e32 v[50:51], v[116:117], v[50:51]
	v_mul_f64_e32 v[116:117], s[14:15], v[124:125]
	s_delay_alu instid0(VALU_DEP_3) | instskip(NEXT) | instid1(VALU_DEP_2)
	v_add_f64_e32 v[54:55], v[60:61], v[54:55]
	v_fma_f64 v[118:119], v[90:91], s[16:17], -v[116:117]
	v_fma_f64 v[60:61], v[90:91], s[16:17], v[116:117]
	s_delay_alu instid0(VALU_DEP_2) | instskip(SKIP_1) | instid1(VALU_DEP_3)
	v_add_f64_e32 v[48:49], v[118:119], v[48:49]
	v_fma_f64 v[118:119], v[92:93], s[16:17], v[114:115]
	v_add_f64_e32 v[52:53], v[60:61], v[52:53]
	v_fma_f64 v[60:61], v[92:93], s[16:17], -v[114:115]
	s_delay_alu instid0(VALU_DEP_3) | instskip(SKIP_1) | instid1(VALU_DEP_3)
	v_add_f64_e32 v[50:51], v[118:119], v[50:51]
	v_mul_f64_e32 v[118:119], s[20:21], v[126:127]
	v_add_f64_e32 v[54:55], v[60:61], v[54:55]
	s_delay_alu instid0(VALU_DEP_2) | instskip(SKIP_1) | instid1(VALU_DEP_2)
	v_fma_f64 v[124:125], v[94:95], s[12:13], -v[118:119]
	v_fma_f64 v[60:61], v[94:95], s[12:13], v[118:119]
	v_add_f64_e32 v[48:49], v[124:125], v[48:49]
	v_fma_f64 v[124:125], v[98:99], s[12:13], v[120:121]
	s_delay_alu instid0(VALU_DEP_3) | instskip(SKIP_1) | instid1(VALU_DEP_3)
	v_add_f64_e32 v[52:53], v[60:61], v[52:53]
	v_fma_f64 v[60:61], v[98:99], s[12:13], -v[120:121]
	v_add_f64_e32 v[50:51], v[124:125], v[50:51]
	v_mul_f64_e32 v[124:125], s[40:41], v[130:131]
	s_delay_alu instid0(VALU_DEP_3) | instskip(SKIP_1) | instid1(VALU_DEP_3)
	v_add_f64_e32 v[54:55], v[60:61], v[54:55]
	v_mul_f64_e32 v[130:131], s[0:1], v[132:133]
	v_fma_f64 v[60:61], v[104:105], s[30:31], v[124:125]
	v_fma_f64 v[126:127], v[104:105], s[30:31], -v[124:125]
	s_delay_alu instid0(VALU_DEP_2) | instskip(SKIP_1) | instid1(VALU_DEP_3)
	v_add_f64_e32 v[52:53], v[60:61], v[52:53]
	v_fma_f64 v[60:61], v[106:107], s[30:31], -v[122:123]
	v_add_f64_e32 v[48:49], v[126:127], v[48:49]
	v_fma_f64 v[126:127], v[106:107], s[30:31], v[122:123]
	s_delay_alu instid0(VALU_DEP_3) | instskip(SKIP_1) | instid1(VALU_DEP_3)
	v_add_f64_e32 v[60:61], v[60:61], v[54:55]
	v_fma_f64 v[54:55], v[108:109], s[10:11], v[130:131]
	v_add_f64_e32 v[126:127], v[126:127], v[50:51]
	v_fma_f64 v[50:51], v[108:109], s[10:11], -v[130:131]
	s_delay_alu instid0(VALU_DEP_3)
	v_add_f64_e32 v[54:55], v[54:55], v[52:53]
	v_add_f64_e32 v[52:53], v[96:97], v[60:61]
	v_fma_f64 v[60:61], v[82:83], s[12:13], v[227:228]
	v_fma_f64 v[96:97], v[110:111], s[12:13], -v[225:226]
	v_add_f64_e32 v[50:51], v[50:51], v[48:49]
	v_fma_f64 v[48:49], v[110:111], s[10:11], v[128:129]
	s_delay_alu instid0(VALU_DEP_4) | instskip(SKIP_1) | instid1(VALU_DEP_3)
	v_add_f64_e32 v[56:57], v[60:61], v[56:57]
	v_fma_f64 v[60:61], v[84:85], s[12:13], -v[229:230]
	v_add_f64_e32 v[48:49], v[48:49], v[126:127]
	s_delay_alu instid0(VALU_DEP_2) | instskip(SKIP_1) | instid1(VALU_DEP_1)
	v_add_f64_e32 v[58:59], v[60:61], v[58:59]
	v_fma_f64 v[60:61], v[86:87], s[10:11], v[231:232]
	v_add_f64_e32 v[56:57], v[60:61], v[56:57]
	v_fma_f64 v[60:61], v[88:89], s[10:11], -v[233:234]
	s_delay_alu instid0(VALU_DEP_1) | instskip(SKIP_1) | instid1(VALU_DEP_1)
	v_add_f64_e32 v[58:59], v[60:61], v[58:59]
	v_fma_f64 v[60:61], v[90:91], s[30:31], v[235:236]
	v_add_f64_e32 v[56:57], v[60:61], v[56:57]
	v_fma_f64 v[60:61], v[92:93], s[30:31], -v[237:238]
	s_delay_alu instid0(VALU_DEP_1) | instskip(SKIP_1) | instid1(VALU_DEP_1)
	;; [unrolled: 5-line block ×4, first 2 shown]
	v_add_f64_e32 v[60:61], v[60:61], v[58:59]
	v_fma_f64 v[58:59], v[108:109], s[24:25], v[247:248]
	v_add_f64_e32 v[58:59], v[58:59], v[56:57]
	s_delay_alu instid0(VALU_DEP_3) | instskip(SKIP_2) | instid1(VALU_DEP_2)
	v_add_f64_e32 v[56:57], v[62:63], v[60:61]
	v_fma_f64 v[60:61], v[78:79], s[30:31], v[201:202]
	v_fma_f64 v[62:63], v[80:81], s[30:31], -v[177:178]
	v_add_f64_e32 v[60:61], v[60:61], v[175:176]
	s_delay_alu instid0(VALU_DEP_2) | instskip(SKIP_1) | instid1(VALU_DEP_1)
	v_add_f64_e32 v[62:63], v[62:63], v[64:65]
	v_fma_f64 v[64:65], v[82:83], s[18:19], v[203:204]
	v_add_f64_e32 v[60:61], v[64:65], v[60:61]
	v_fma_f64 v[64:65], v[84:85], s[18:19], -v[205:206]
	s_delay_alu instid0(VALU_DEP_1) | instskip(SKIP_1) | instid1(VALU_DEP_1)
	v_add_f64_e32 v[62:63], v[64:65], v[62:63]
	v_fma_f64 v[64:65], v[86:87], s[4:5], v[207:208]
	v_add_f64_e32 v[60:61], v[64:65], v[60:61]
	v_fma_f64 v[64:65], v[88:89], s[4:5], -v[209:210]
	s_delay_alu instid0(VALU_DEP_1) | instskip(SKIP_1) | instid1(VALU_DEP_1)
	;; [unrolled: 5-line block ×5, first 2 shown]
	v_add_f64_e32 v[64:65], v[64:65], v[62:63]
	v_fma_f64 v[62:63], v[108:109], s[12:13], v[223:224]
	v_add_f64_e32 v[62:63], v[62:63], v[60:61]
	s_delay_alu instid0(VALU_DEP_3) | instskip(SKIP_3) | instid1(VALU_DEP_3)
	v_add_f64_e32 v[60:61], v[96:97], v[64:65]
	v_fma_f64 v[64:65], v[78:79], s[24:25], v[160:161]
	v_fma_f64 v[96:97], v[80:81], s[24:25], -v[162:163]
	v_fma_f64 v[78:79], v[82:83], s[24:25], v[134:135]
	v_add_f64_e32 v[64:65], v[64:65], v[179:180]
	s_delay_alu instid0(VALU_DEP_3) | instskip(SKIP_1) | instid1(VALU_DEP_4)
	v_add_f64_e32 v[66:67], v[96:97], v[66:67]
	v_fma_f64 v[96:97], v[82:83], s[30:31], v[164:165]
	v_add_f64_e32 v[18:19], v[78:79], v[18:19]
	v_fma_f64 v[78:79], v[88:89], s[30:31], -v[140:141]
	s_delay_alu instid0(VALU_DEP_3) | instskip(SKIP_1) | instid1(VALU_DEP_4)
	v_add_f64_e32 v[64:65], v[96:97], v[64:65]
	v_fma_f64 v[96:97], v[84:85], s[30:31], -v[168:169]
	v_add_f64_e32 v[18:19], v[70:71], v[18:19]
	v_fma_f64 v[70:71], v[92:93], s[26:27], -v[144:145]
	v_add_f64_e32 v[16:17], v[78:79], v[16:17]
	v_fma_f64 v[78:79], v[94:95], s[18:19], v[146:147]
	v_add_f64_e32 v[66:67], v[96:97], v[66:67]
	v_fma_f64 v[96:97], v[86:87], s[18:19], v[181:182]
	v_add_f64_e32 v[18:19], v[68:69], v[18:19]
	v_fma_f64 v[68:69], v[98:99], s[18:19], -v[148:149]
	v_add_f64_e32 v[16:17], v[70:71], v[16:17]
	v_fma_f64 v[70:71], v[104:105], s[10:11], v[150:151]
	v_add_f64_e32 v[64:65], v[96:97], v[64:65]
	v_fma_f64 v[96:97], v[88:89], s[18:19], -v[183:184]
	v_add_f64_e32 v[18:19], v[78:79], v[18:19]
	v_fma_f64 v[78:79], v[106:107], s[10:11], -v[152:153]
	v_add_f64_e32 v[16:17], v[68:69], v[16:17]
	v_fma_f64 v[68:69], v[108:109], s[4:5], v[154:155]
	v_add_f64_e32 v[66:67], v[96:97], v[66:67]
	v_fma_f64 v[96:97], v[90:91], s[12:13], v[185:186]
	v_add_f64_e32 v[18:19], v[70:71], v[18:19]
	v_fma_f64 v[70:71], v[110:111], s[4:5], -v[156:157]
	v_add_f64_e32 v[16:17], v[78:79], v[16:17]
	s_delay_alu instid0(VALU_DEP_4) | instskip(SKIP_2) | instid1(VALU_DEP_4)
	v_add_f64_e32 v[64:65], v[96:97], v[64:65]
	v_fma_f64 v[96:97], v[92:93], s[12:13], -v[187:188]
	v_add_f64_e32 v[18:19], v[68:69], v[18:19]
	v_add_f64_e32 v[16:17], v[70:71], v[16:17]
	v_lshl_add_u32 v68, v74, 8, v174
	s_delay_alu instid0(VALU_DEP_4) | instskip(SKIP_1) | instid1(VALU_DEP_1)
	v_add_f64_e32 v[66:67], v[96:97], v[66:67]
	v_fma_f64 v[96:97], v[94:95], s[4:5], v[189:190]
	v_add_f64_e32 v[64:65], v[96:97], v[64:65]
	v_fma_f64 v[96:97], v[98:99], s[4:5], -v[191:192]
	s_delay_alu instid0(VALU_DEP_1) | instskip(SKIP_1) | instid1(VALU_DEP_1)
	v_add_f64_e32 v[66:67], v[96:97], v[66:67]
	v_fma_f64 v[96:97], v[104:105], s[16:17], v[193:194]
	v_add_f64_e32 v[64:65], v[96:97], v[64:65]
	v_fma_f64 v[96:97], v[106:107], s[16:17], -v[195:196]
	s_delay_alu instid0(VALU_DEP_1) | instskip(SKIP_1) | instid1(VALU_DEP_1)
	v_add_f64_e32 v[96:97], v[96:97], v[66:67]
	v_fma_f64 v[66:67], v[108:109], s[26:27], v[197:198]
	v_add_f64_e32 v[66:67], v[66:67], v[64:65]
	s_delay_alu instid0(VALU_DEP_3)
	v_add_f64_e32 v[64:65], v[100:101], v[96:97]
	ds_store_b128 v68, v[8:11]
	ds_store_b128 v68, v[28:31] offset:16
	ds_store_b128 v68, v[32:35] offset:32
	ds_store_b128 v68, v[36:39] offset:48
	ds_store_b128 v68, v[40:43] offset:64
	ds_store_b128 v68, v[44:47] offset:80
	ds_store_b128 v68, v[48:51] offset:96
	ds_store_b128 v68, v[24:27] offset:112
	ds_store_b128 v68, v[12:15] offset:128
	ds_store_b128 v68, v[4:7] offset:144
	ds_store_b128 v68, v[20:23] offset:160
	ds_store_b128 v68, v[52:55] offset:176
	ds_store_b128 v68, v[56:59] offset:192
	ds_store_b128 v68, v[60:63] offset:208
	ds_store_b128 v68, v[64:67] offset:224
	ds_store_b128 v68, v[16:19] offset:240
	ds_store_b128 v68, v[0:3] offset:256
.LBB0_15:
	s_or_b32 exec_lo, exec_lo, s33
	v_add_nc_u16 v78, v74, 51
	v_add_nc_u16 v89, v74, 0x66
	v_and_b32_e32 v4, 0xff, v74
	v_add_nc_u16 v88, v74, 0x99
	v_add_nc_u16 v83, v74, 0xcc
	v_and_b32_e32 v5, 0xff, v78
	v_and_b32_e32 v6, 0xff, v89
	v_mul_lo_u16 v4, 0xf1, v4
	v_add_nc_u32_e32 v82, 0xff, v74
	v_and_b32_e32 v7, 0xff, v88
	v_mul_lo_u16 v90, 0xf1, v5
	v_add_nc_u32_e32 v81, 0x132, v74
	;; [unrolled: 3-line block ×3, first 2 shown]
	v_lshrrev_b16 v117, 12, v4
	v_and_b32_e32 v85, 0xffff, v82
	v_mul_lo_u16 v92, 0xf1, v7
	v_lshrrev_b16 v118, 12, v90
	v_and_b32_e32 v84, 0xffff, v81
	v_mul_lo_u16 v91, 0xf1, v75
	v_lshrrev_b16 v119, 12, v79
	v_and_b32_e32 v86, 0xffff, v80
	v_mul_lo_u16 v4, v117, 17
	v_lshrrev_b16 v123, 12, v92
	v_mul_u32_u24_e32 v87, 0xf0f1, v85
	v_mul_lo_u16 v5, v118, 17
	v_lshrrev_b16 v124, 12, v91
	v_mul_u32_u24_e32 v12, 0xf0f1, v84
	v_mul_lo_u16 v6, v119, 17
	v_mul_u32_u24_e32 v13, 0xf0f1, v86
	v_sub_nc_u16 v4, v74, v4
	v_mul_lo_u16 v14, v123, 17
	v_lshrrev_b32_e32 v125, 20, v87
	v_sub_nc_u16 v5, v78, v5
	v_mul_lo_u16 v15, v124, 17
	v_lshrrev_b32_e32 v126, 20, v12
	v_sub_nc_u16 v6, v89, v6
	v_lshrrev_b32_e32 v127, 20, v13
	v_and_b32_e32 v4, 0xff, v4
	v_sub_nc_u16 v12, v88, v14
	v_mul_lo_u16 v13, v125, 17
	v_and_b32_e32 v5, 0xff, v5
	v_sub_nc_u16 v14, v83, v15
	v_mul_lo_u16 v15, v126, 17
	v_and_b32_e32 v6, 0xff, v6
	v_mul_lo_u16 v16, v127, 17
	v_lshlrev_b32_e32 v120, 4, v4
	v_and_b32_e32 v12, 0xff, v12
	v_sub_nc_u16 v13, v82, v13
	v_lshlrev_b32_e32 v121, 4, v5
	v_and_b32_e32 v14, 0xff, v14
	v_sub_nc_u16 v15, v81, v15
	v_lshlrev_b32_e32 v122, 4, v6
	v_sub_nc_u16 v16, v80, v16
	s_load_b64 s[2:3], s[2:3], 0x0
	global_wb scope:SCOPE_SE
	s_wait_dscnt 0x0
	s_wait_kmcnt 0x0
	s_barrier_signal -1
	s_barrier_wait -1
	global_inv scope:SCOPE_SE
	s_clause 0x1
	global_load_b128 v[4:7], v120, s[8:9]
	global_load_b128 v[8:11], v121, s[8:9]
	v_lshlrev_b32_e32 v128, 4, v12
	v_and_b32_e32 v17, 0xffff, v13
	v_lshlrev_b32_e32 v129, 4, v14
	v_and_b32_e32 v20, 0xffff, v15
	v_and_b32_e32 v24, 0xffff, v16
	global_load_b128 v[12:15], v122, s[8:9]
	v_lshlrev_b32_e32 v130, 4, v17
	global_load_b128 v[16:19], v128, s[8:9]
	v_lshlrev_b32_e32 v131, 4, v20
	;; [unrolled: 2-line block ×3, first 2 shown]
	s_clause 0x2
	global_load_b128 v[24:27], v130, s[8:9]
	global_load_b128 v[28:31], v131, s[8:9]
	global_load_b128 v[32:35], v132, s[8:9]
	ds_load_b128 v[36:39], v174 offset:6528
	ds_load_b128 v[40:43], v174 offset:7344
	;; [unrolled: 1-line block ×8, first 2 shown]
	v_cmp_gt_u32_e64 s0, 17, v74
	s_wait_loadcnt_dscnt 0x707
	v_mul_f64_e32 v[68:69], v[38:39], v[6:7]
	v_mul_f64_e32 v[6:7], v[36:37], v[6:7]
	s_wait_loadcnt_dscnt 0x606
	v_mul_f64_e32 v[70:71], v[42:43], v[10:11]
	v_mul_f64_e32 v[10:11], v[40:41], v[10:11]
	;; [unrolled: 3-line block ×8, first 2 shown]
	v_fma_f64 v[68:69], v[36:37], v[4:5], v[68:69]
	v_fma_f64 v[4:5], v[38:39], v[4:5], -v[6:7]
	v_fma_f64 v[6:7], v[40:41], v[8:9], v[70:71]
	v_fma_f64 v[70:71], v[42:43], v[8:9], -v[10:11]
	;; [unrolled: 2-line block ×8, first 2 shown]
	ds_load_b128 v[8:11], v174
	ds_load_b128 v[12:15], v174 offset:816
	ds_load_b128 v[16:19], v174 offset:1632
	ds_load_b128 v[20:23], v174 offset:2448
	ds_load_b128 v[24:27], v174 offset:3264
	ds_load_b128 v[28:31], v174 offset:4080
	ds_load_b128 v[32:35], v174 offset:4896
	ds_load_b128 v[36:39], v174 offset:5712
	global_wb scope:SCOPE_SE
	s_wait_dscnt 0x0
	s_barrier_signal -1
	s_barrier_wait -1
	global_inv scope:SCOPE_SE
	v_add_f64_e64 v[40:41], v[8:9], -v[68:69]
	v_add_f64_e64 v[42:43], v[10:11], -v[4:5]
	;; [unrolled: 1-line block ×4, first 2 shown]
	v_and_b32_e32 v68, 0xffff, v117
	v_and_b32_e32 v69, 0xffff, v118
	;; [unrolled: 1-line block ×3, first 2 shown]
	v_add_f64_e64 v[48:49], v[16:17], -v[93:94]
	v_add_f64_e64 v[50:51], v[18:19], -v[105:106]
	;; [unrolled: 1-line block ×12, first 2 shown]
	v_and_b32_e32 v71, 0xffff, v123
	v_mul_u32_u24_e32 v68, 0x220, v68
	v_and_b32_e32 v93, 0xffff, v124
	v_mul_u32_u24_e32 v69, 0x220, v69
	v_mul_u32_u24_e32 v70, 0x220, v70
	;; [unrolled: 1-line block ×7, first 2 shown]
	v_add3_u32 v68, 0, v68, v120
	v_add3_u32 v69, 0, v69, v121
	;; [unrolled: 1-line block ×8, first 2 shown]
	v_fma_f64 v[8:9], v[8:9], 2.0, -v[40:41]
	v_fma_f64 v[10:11], v[10:11], 2.0, -v[42:43]
	;; [unrolled: 1-line block ×16, first 2 shown]
	ds_store_b128 v68, v[8:11]
	ds_store_b128 v68, v[40:43] offset:272
	ds_store_b128 v69, v[12:15]
	ds_store_b128 v69, v[44:47] offset:272
	;; [unrolled: 2-line block ×8, first 2 shown]
	global_wb scope:SCOPE_SE
	s_wait_dscnt 0x0
	s_barrier_signal -1
	s_barrier_wait -1
	global_inv scope:SCOPE_SE
	ds_load_b128 v[12:15], v174
	ds_load_b128 v[24:27], v174 offset:816
	ds_load_b128 v[32:35], v174 offset:8704
	ds_load_b128 v[56:59], v174 offset:9520
	ds_load_b128 v[64:67], v174 offset:5168
	ds_load_b128 v[36:39], v174 offset:5984
	ds_load_b128 v[28:31], v174 offset:1632
	ds_load_b128 v[16:19], v174 offset:2448
	ds_load_b128 v[52:55], v174 offset:10336
	ds_load_b128 v[40:43], v174 offset:11152
	ds_load_b128 v[68:71], v174 offset:4352
	ds_load_b128 v[20:23], v174 offset:3264
	ds_load_b128 v[60:63], v174 offset:6800
	ds_load_b128 v[44:47], v174 offset:7616
	ds_load_b128 v[48:51], v174 offset:11968
                                        ; implicit-def: $vgpr10_vgpr11
	s_and_saveexec_b32 s1, s0
	s_cbranch_execz .LBB0_17
; %bb.16:
	ds_load_b128 v[4:7], v174 offset:4080
	ds_load_b128 v[0:3], v174 offset:8432
	;; [unrolled: 1-line block ×3, first 2 shown]
.LBB0_17:
	s_wait_alu 0xfffe
	s_or_b32 exec_lo, exec_lo, s1
	v_lshrrev_b16 v148, 13, v90
	v_lshrrev_b16 v149, 13, v79
	v_subrev_nc_u32_e32 v79, 34, v74
	v_cmp_gt_u32_e64 s1, 34, v74
	v_lshrrev_b16 v151, 13, v92
	v_mul_lo_u16 v90, v148, 34
	v_mul_lo_u16 v93, v149, 34
	v_lshrrev_b16 v152, 13, v91
	s_wait_alu 0xf1ff
	v_cndmask_b32_e64 v150, v79, v74, s1
	v_mov_b32_e32 v79, 0
	v_sub_nc_u16 v90, v78, v90
	v_sub_nc_u16 v89, v89, v93
	v_mul_lo_u16 v91, v151, 34
	v_lshlrev_b32_e32 v78, 1, v150
	s_mov_b32 s4, 0xe8584caa
	v_and_b32_e32 v153, 0xff, v90
	v_and_b32_e32 v154, 0xff, v89
	v_sub_nc_u16 v96, v88, v91
	v_lshlrev_b64_e32 v[89:90], 4, v[78:79]
	v_mul_lo_u16 v78, v152, 34
	v_lshlrev_b32_e32 v92, 5, v153
	v_lshlrev_b32_e32 v100, 5, v154
	v_and_b32_e32 v155, 0xff, v96
	s_mov_b32 s5, 0xbfebb67a
	v_add_co_u32 v108, s1, s8, v89
	s_wait_alu 0xf1ff
	v_add_co_ci_u32_e64 v109, s1, s9, v90, s1
	v_sub_nc_u16 v78, v83, v78
	s_clause 0x5
	global_load_b128 v[88:91], v92, s[8:9] offset:288
	global_load_b128 v[92:95], v92, s[8:9] offset:272
	;; [unrolled: 1-line block ×4, first 2 shown]
	global_load_b128 v[104:107], v[108:109], off offset:288
	global_load_b128 v[108:111], v[108:109], off offset:272
	v_lshlrev_b32_e32 v116, 5, v155
	s_mov_b32 s11, 0x3febb67a
	v_and_b32_e32 v78, 0xff, v78
	s_wait_alu 0xfffe
	s_mov_b32 s10, s4
	v_cmp_lt_u32_e64 s1, 33, v74
	s_delay_alu instid0(VALU_DEP_2)
	v_lshlrev_b32_e32 v124, 5, v78
	s_clause 0x3
	global_load_b128 v[112:115], v116, s[8:9] offset:272
	global_load_b128 v[116:119], v116, s[8:9] offset:288
	;; [unrolled: 1-line block ×4, first 2 shown]
	v_lshlrev_b32_e32 v78, 4, v78
	global_wb scope:SCOPE_SE
	s_wait_loadcnt_dscnt 0x0
	s_barrier_signal -1
	s_barrier_wait -1
	global_inv scope:SCOPE_SE
	v_mul_f64_e32 v[134:135], v[54:55], v[98:99]
	v_mul_f64_e32 v[130:131], v[58:59], v[90:91]
	;; [unrolled: 1-line block ×20, first 2 shown]
	v_fma_f64 v[52:53], v[52:53], v[96:97], v[134:135]
	v_fma_f64 v[56:57], v[56:57], v[88:89], v[130:131]
	;; [unrolled: 1-line block ×3, first 2 shown]
	v_fma_f64 v[66:67], v[66:67], v[92:93], -v[94:95]
	v_fma_f64 v[58:59], v[58:59], v[88:89], -v[90:91]
	v_fma_f64 v[36:37], v[36:37], v[100:101], v[132:133]
	v_fma_f64 v[68:69], v[68:69], v[108:109], v[136:137]
	;; [unrolled: 1-line block ×3, first 2 shown]
	v_fma_f64 v[70:71], v[70:71], v[108:109], -v[110:111]
	v_fma_f64 v[34:35], v[34:35], v[104:105], -v[106:107]
	;; [unrolled: 1-line block ×4, first 2 shown]
	v_fma_f64 v[60:61], v[60:61], v[112:113], v[140:141]
	v_fma_f64 v[40:41], v[40:41], v[116:117], v[142:143]
	v_fma_f64 v[62:63], v[62:63], v[112:113], -v[114:115]
	v_fma_f64 v[42:43], v[42:43], v[116:117], -v[118:119]
	v_fma_f64 v[44:45], v[44:45], v[120:121], v[144:145]
	v_fma_f64 v[48:49], v[48:49], v[124:125], v[146:147]
	v_fma_f64 v[46:47], v[46:47], v[120:121], -v[122:123]
	v_fma_f64 v[50:51], v[50:51], v[124:125], -v[126:127]
	v_add_f64_e32 v[88:89], v[64:65], v[56:57]
	v_add_f64_e32 v[108:109], v[24:25], v[64:65]
	;; [unrolled: 1-line block ×10, first 2 shown]
	v_add_f64_e64 v[128:129], v[38:39], -v[54:55]
	v_add_f64_e32 v[100:101], v[60:61], v[40:41]
	v_add_f64_e64 v[70:71], v[70:71], -v[34:35]
	v_add_f64_e32 v[102:103], v[62:63], v[42:43]
	;; [unrolled: 2-line block ×3, first 2 shown]
	v_add_f64_e32 v[120:121], v[20:21], v[44:45]
	v_add_f64_e32 v[106:107], v[46:47], v[50:51]
	;; [unrolled: 1-line block ×3, first 2 shown]
	v_add_f64_e64 v[110:111], v[66:67], -v[58:59]
	v_add_f64_e32 v[66:67], v[26:27], v[66:67]
	v_add_f64_e64 v[64:65], v[64:65], -v[56:57]
	v_add_f64_e32 v[112:113], v[28:29], v[36:37]
	v_add_f64_e32 v[116:117], v[16:17], v[60:61]
	;; [unrolled: 1-line block ×3, first 2 shown]
	v_add_f64_e64 v[62:63], v[62:63], -v[42:43]
	v_add_f64_e64 v[130:131], v[60:61], -v[40:41]
	;; [unrolled: 1-line block ×4, first 2 shown]
	v_fma_f64 v[88:89], v[88:89], -0.5, v[24:25]
	v_fma_f64 v[38:39], v[90:91], -0.5, v[26:27]
	;; [unrolled: 1-line block ×3, first 2 shown]
	v_add_f64_e32 v[28:29], v[124:125], v[32:33]
	v_fma_f64 v[92:93], v[94:95], -0.5, v[12:13]
	v_add_f64_e32 v[12:13], v[108:109], v[56:57]
	v_fma_f64 v[94:95], v[96:97], -0.5, v[14:15]
	v_add_f64_e64 v[96:97], v[36:37], -v[52:53]
	v_fma_f64 v[98:99], v[98:99], -0.5, v[30:31]
	v_add_f64_e32 v[30:31], v[126:127], v[34:35]
	v_fma_f64 v[100:101], v[100:101], -0.5, v[16:17]
	v_fma_f64 v[102:103], v[102:103], -0.5, v[18:19]
	v_add_f64_e32 v[18:19], v[114:115], v[54:55]
	v_fma_f64 v[104:105], v[104:105], -0.5, v[20:21]
	v_add_f64_e32 v[24:25], v[120:121], v[48:49]
	;; [unrolled: 2-line block ×3, first 2 shown]
	v_add_f64_e32 v[14:15], v[66:67], v[58:59]
	v_add_f64_e32 v[16:17], v[112:113], v[52:53]
	;; [unrolled: 1-line block ×4, first 2 shown]
	v_fma_f64 v[32:33], v[110:111], s[4:5], v[88:89]
	s_wait_alu 0xfffe
	v_fma_f64 v[36:37], v[110:111], s[10:11], v[88:89]
	v_fma_f64 v[34:35], v[64:65], s[10:11], v[38:39]
	;; [unrolled: 1-line block ×19, first 2 shown]
	v_and_b32_e32 v89, 0xffff, v148
	s_wait_alu 0xf1ff
	v_cndmask_b32_e64 v88, 0, 0x660, s1
	v_and_b32_e32 v90, 0xffff, v149
	v_and_b32_e32 v91, 0xffff, v151
	;; [unrolled: 1-line block ×3, first 2 shown]
	v_lshlrev_b32_e32 v93, 4, v150
	v_mul_u32_u24_e32 v89, 0x660, v89
	v_lshlrev_b32_e32 v94, 4, v153
	v_mul_u32_u24_e32 v90, 0x660, v90
	v_mul_u32_u24_e32 v91, 0x660, v91
	;; [unrolled: 1-line block ×3, first 2 shown]
	v_lshlrev_b32_e32 v95, 4, v154
	v_lshlrev_b32_e32 v96, 4, v155
	v_add3_u32 v88, 0, v88, v93
	v_add3_u32 v89, 0, v89, v94
	;; [unrolled: 1-line block ×5, first 2 shown]
	ds_store_b128 v88, v[28:31]
	ds_store_b128 v88, v[44:47] offset:544
	ds_store_b128 v88, v[48:51] offset:1088
	ds_store_b128 v89, v[12:15]
	ds_store_b128 v89, v[32:35] offset:544
	ds_store_b128 v89, v[36:39] offset:1088
	;; [unrolled: 3-line block ×5, first 2 shown]
	s_and_saveexec_b32 s1, s0
	s_cbranch_execz .LBB0_19
; %bb.18:
	v_lshrrev_b32_e32 v12, 21, v87
	s_delay_alu instid0(VALU_DEP_1) | instskip(NEXT) | instid1(VALU_DEP_1)
	v_mul_lo_u16 v12, v12, 34
	v_sub_nc_u16 v12, v82, v12
	s_delay_alu instid0(VALU_DEP_1) | instskip(NEXT) | instid1(VALU_DEP_1)
	v_and_b32_e32 v24, 0xffff, v12
	v_lshlrev_b32_e32 v16, 5, v24
	s_clause 0x1
	global_load_b128 v[12:15], v16, s[8:9] offset:272
	global_load_b128 v[16:19], v16, s[8:9] offset:288
	s_wait_loadcnt 0x1
	v_mul_f64_e32 v[20:21], v[0:1], v[14:15]
	s_wait_loadcnt 0x0
	v_mul_f64_e32 v[22:23], v[8:9], v[18:19]
	v_mul_f64_e32 v[14:15], v[2:3], v[14:15]
	;; [unrolled: 1-line block ×3, first 2 shown]
	s_delay_alu instid0(VALU_DEP_4) | instskip(NEXT) | instid1(VALU_DEP_4)
	v_fma_f64 v[2:3], v[2:3], v[12:13], -v[20:21]
	v_fma_f64 v[10:11], v[10:11], v[16:17], -v[22:23]
	s_delay_alu instid0(VALU_DEP_4) | instskip(NEXT) | instid1(VALU_DEP_4)
	v_fma_f64 v[0:1], v[0:1], v[12:13], v[14:15]
	v_fma_f64 v[8:9], v[8:9], v[16:17], v[18:19]
	s_delay_alu instid0(VALU_DEP_4) | instskip(NEXT) | instid1(VALU_DEP_4)
	v_add_f64_e32 v[18:19], v[6:7], v[2:3]
	v_add_f64_e32 v[12:13], v[2:3], v[10:11]
	v_add_f64_e64 v[20:21], v[2:3], -v[10:11]
	s_delay_alu instid0(VALU_DEP_4)
	v_add_f64_e32 v[14:15], v[0:1], v[8:9]
	v_add_f64_e64 v[16:17], v[0:1], -v[8:9]
	v_add_f64_e32 v[0:1], v[4:5], v[0:1]
	v_add_f64_e32 v[2:3], v[18:19], v[10:11]
	v_fma_f64 v[12:13], v[12:13], -0.5, v[6:7]
	v_fma_f64 v[4:5], v[14:15], -0.5, v[4:5]
	s_delay_alu instid0(VALU_DEP_4) | instskip(NEXT) | instid1(VALU_DEP_3)
	v_add_f64_e32 v[0:1], v[0:1], v[8:9]
	v_fma_f64 v[10:11], v[16:17], s[10:11], v[12:13]
	v_fma_f64 v[6:7], v[16:17], s[4:5], v[12:13]
	s_delay_alu instid0(VALU_DEP_4)
	v_fma_f64 v[8:9], v[20:21], s[4:5], v[4:5]
	v_fma_f64 v[4:5], v[20:21], s[10:11], v[4:5]
	v_lshl_add_u32 v12, v24, 4, 0
	ds_store_b128 v12, v[0:3] offset:11424
	ds_store_b128 v12, v[8:11] offset:11968
	;; [unrolled: 1-line block ×3, first 2 shown]
.LBB0_19:
	s_wait_alu 0xfffe
	s_or_b32 exec_lo, exec_lo, s1
	v_mul_lo_u16 v0, 0xa1, v75
	v_mul_u32_u24_e32 v1, 0xa0a1, v85
	v_mul_u32_u24_e32 v2, 0xa0a1, v84
	;; [unrolled: 1-line block ×3, first 2 shown]
	global_wb scope:SCOPE_SE
	s_wait_dscnt 0x0
	v_lshrrev_b16 v0, 14, v0
	v_lshrrev_b32_e32 v1, 22, v1
	v_lshrrev_b32_e32 v2, 22, v2
	;; [unrolled: 1-line block ×3, first 2 shown]
	s_barrier_signal -1
	v_mul_lo_u16 v0, 0x66, v0
	v_mul_lo_u16 v1, 0x66, v1
	;; [unrolled: 1-line block ×4, first 2 shown]
	s_barrier_wait -1
	v_sub_nc_u16 v0, v83, v0
	v_mov_b32_e32 v75, v79
	v_sub_nc_u16 v1, v82, v1
	v_sub_nc_u16 v14, v81, v4
	;; [unrolled: 1-line block ×3, first 2 shown]
	v_and_b32_e32 v0, 0xff, v0
	v_lshlrev_b64_e32 v[8:9], 4, v[74:75]
	v_and_b32_e32 v1, 0xffff, v1
	v_and_b32_e32 v14, 0xffff, v14
	global_inv scope:SCOPE_SE
	v_lshlrev_b32_e32 v75, 4, v0
	v_and_b32_e32 v0, 0xffff, v15
	v_add_co_u32 v2, s0, s8, v8
	s_wait_alu 0xf1ff
	v_add_co_ci_u32_e64 v3, s0, s9, v9, s0
	v_lshlrev_b32_e32 v98, 4, v1
	v_lshlrev_b32_e32 v99, 4, v14
	s_clause 0x2
	global_load_b128 v[4:7], v[2:3], off offset:1360
	global_load_b128 v[10:13], v[2:3], off offset:2176
	global_load_b128 v[14:17], v75, s[8:9] offset:1360
	v_lshlrev_b32_e32 v100, 4, v0
	s_clause 0x2
	global_load_b128 v[18:21], v98, s[8:9] offset:1360
	global_load_b128 v[22:25], v99, s[8:9] offset:1360
	;; [unrolled: 1-line block ×3, first 2 shown]
	ds_load_b128 v[30:33], v174 offset:6528
	ds_load_b128 v[34:37], v174 offset:7344
	;; [unrolled: 1-line block ×8, first 2 shown]
	v_cmp_ne_u32_e64 s0, 0, v74
	s_wait_loadcnt_dscnt 0x507
	v_mul_f64_e32 v[0:1], v[32:33], v[6:7]
	v_mul_f64_e32 v[62:63], v[30:31], v[6:7]
	s_wait_loadcnt_dscnt 0x406
	v_mul_f64_e32 v[64:65], v[36:37], v[12:13]
	v_mul_f64_e32 v[66:67], v[34:35], v[12:13]
	s_wait_dscnt 0x5
	v_mul_f64_e32 v[68:69], v[40:41], v[6:7]
	v_mul_f64_e32 v[6:7], v[38:39], v[6:7]
	s_wait_dscnt 0x4
	v_mul_f64_e32 v[70:71], v[44:45], v[12:13]
	v_mul_f64_e32 v[12:13], v[42:43], v[12:13]
	s_wait_loadcnt_dscnt 0x303
	v_mul_f64_e32 v[78:79], v[48:49], v[16:17]
	v_mul_f64_e32 v[16:17], v[46:47], v[16:17]
	s_wait_loadcnt_dscnt 0x202
	;; [unrolled: 3-line block ×4, first 2 shown]
	v_mul_f64_e32 v[84:85], v[60:61], v[28:29]
	v_mul_f64_e32 v[28:29], v[58:59], v[28:29]
	v_fma_f64 v[0:1], v[30:31], v[4:5], v[0:1]
	v_fma_f64 v[62:63], v[32:33], v[4:5], -v[62:63]
	v_fma_f64 v[64:65], v[34:35], v[10:11], v[64:65]
	v_fma_f64 v[66:67], v[36:37], v[10:11], -v[66:67]
	;; [unrolled: 2-line block ×8, first 2 shown]
	ds_load_b128 v[4:7], v174
	ds_load_b128 v[10:13], v174 offset:816
	ds_load_b128 v[14:17], v174 offset:1632
	;; [unrolled: 1-line block ×7, first 2 shown]
	global_wb scope:SCOPE_SE
	s_wait_dscnt 0x0
	s_barrier_signal -1
	s_barrier_wait -1
	global_inv scope:SCOPE_SE
	v_add_f64_e64 v[38:39], v[4:5], -v[0:1]
	v_add_f64_e64 v[40:41], v[6:7], -v[62:63]
	;; [unrolled: 1-line block ×16, first 2 shown]
	v_add_nc_u32_e32 v0, 0, v75
	v_add_nc_u32_e32 v1, 0, v98
	;; [unrolled: 1-line block ×4, first 2 shown]
	v_fma_f64 v[4:5], v[4:5], 2.0, -v[38:39]
	v_fma_f64 v[6:7], v[6:7], 2.0, -v[40:41]
	;; [unrolled: 1-line block ×16, first 2 shown]
	ds_store_b128 v174, v[38:41] offset:1632
	ds_store_b128 v174, v[42:45] offset:2448
	;; [unrolled: 1-line block ×4, first 2 shown]
	ds_store_b128 v174, v[4:7]
	ds_store_b128 v174, v[10:13] offset:816
	ds_store_b128 v174, v[14:17] offset:3264
	;; [unrolled: 1-line block ×11, first 2 shown]
	global_wb scope:SCOPE_SE
	s_wait_dscnt 0x0
	s_barrier_signal -1
	s_barrier_wait -1
	global_inv scope:SCOPE_SE
	s_clause 0x3
	global_load_b128 v[4:7], v[2:3], off offset:2992
	global_load_b128 v[10:13], v[2:3], off offset:3808
	global_load_b128 v[14:17], v[2:3], off offset:4624
	global_load_b128 v[18:21], v[2:3], off offset:5440
	ds_load_b128 v[22:25], v174 offset:6528
	ds_load_b128 v[26:29], v174 offset:7344
	;; [unrolled: 1-line block ×8, first 2 shown]
	s_wait_loadcnt_dscnt 0x307
	v_mul_f64_e32 v[0:1], v[24:25], v[6:7]
	v_mul_f64_e32 v[54:55], v[22:23], v[6:7]
	s_wait_loadcnt_dscnt 0x206
	v_mul_f64_e32 v[56:57], v[28:29], v[12:13]
	v_mul_f64_e32 v[58:59], v[26:27], v[12:13]
	s_wait_loadcnt_dscnt 0x105
	v_mul_f64_e32 v[60:61], v[32:33], v[16:17]
	v_mul_f64_e32 v[62:63], v[30:31], v[16:17]
	s_wait_loadcnt_dscnt 0x4
	v_mul_f64_e32 v[64:65], v[36:37], v[20:21]
	v_mul_f64_e32 v[66:67], v[34:35], v[20:21]
	s_wait_dscnt 0x3
	v_mul_f64_e32 v[68:69], v[40:41], v[6:7]
	v_mul_f64_e32 v[6:7], v[38:39], v[6:7]
	s_wait_dscnt 0x2
	v_mul_f64_e32 v[70:71], v[44:45], v[12:13]
	v_mul_f64_e32 v[12:13], v[42:43], v[12:13]
	;; [unrolled: 3-line block ×4, first 2 shown]
	v_fma_f64 v[0:1], v[22:23], v[4:5], v[0:1]
	v_fma_f64 v[54:55], v[24:25], v[4:5], -v[54:55]
	v_fma_f64 v[56:57], v[26:27], v[10:11], v[56:57]
	v_fma_f64 v[58:59], v[28:29], v[10:11], -v[58:59]
	;; [unrolled: 2-line block ×8, first 2 shown]
	ds_load_b128 v[4:7], v174
	ds_load_b128 v[10:13], v174 offset:816
	ds_load_b128 v[14:17], v174 offset:1632
	;; [unrolled: 1-line block ×7, first 2 shown]
	global_wb scope:SCOPE_SE
	s_wait_dscnt 0x0
	s_barrier_signal -1
	s_barrier_wait -1
	global_inv scope:SCOPE_SE
	v_add_f64_e64 v[38:39], v[4:5], -v[0:1]
	v_add_f64_e64 v[40:41], v[6:7], -v[54:55]
	;; [unrolled: 1-line block ×16, first 2 shown]
	v_fma_f64 v[4:5], v[4:5], 2.0, -v[38:39]
	v_fma_f64 v[6:7], v[6:7], 2.0, -v[40:41]
	;; [unrolled: 1-line block ×16, first 2 shown]
	ds_store_b128 v174, v[38:41] offset:3264
	ds_store_b128 v174, v[42:45] offset:4080
	;; [unrolled: 1-line block ×8, first 2 shown]
	ds_store_b128 v174, v[4:7]
	ds_store_b128 v174, v[10:13] offset:816
	ds_store_b128 v174, v[14:17] offset:1632
	;; [unrolled: 1-line block ×7, first 2 shown]
	global_wb scope:SCOPE_SE
	s_wait_dscnt 0x0
	s_barrier_signal -1
	s_barrier_wait -1
	global_inv scope:SCOPE_SE
	s_clause 0x7
	global_load_b128 v[4:7], v[2:3], off offset:6256
	global_load_b128 v[10:13], v[2:3], off offset:7072
	;; [unrolled: 1-line block ×8, first 2 shown]
	ds_load_b128 v[38:41], v174 offset:6528
	ds_load_b128 v[42:45], v174 offset:7344
	;; [unrolled: 1-line block ×8, first 2 shown]
	s_wait_loadcnt_dscnt 0x707
	v_mul_f64_e32 v[0:1], v[40:41], v[6:7]
	v_mul_f64_e32 v[6:7], v[38:39], v[6:7]
	s_wait_loadcnt_dscnt 0x606
	v_mul_f64_e32 v[70:71], v[44:45], v[12:13]
	v_mul_f64_e32 v[12:13], v[42:43], v[12:13]
	;; [unrolled: 3-line block ×8, first 2 shown]
	v_fma_f64 v[0:1], v[38:39], v[4:5], v[0:1]
	v_fma_f64 v[40:41], v[40:41], v[4:5], -v[6:7]
	v_fma_f64 v[42:43], v[42:43], v[10:11], v[70:71]
	v_fma_f64 v[44:45], v[44:45], v[10:11], -v[12:13]
	;; [unrolled: 2-line block ×8, first 2 shown]
	ds_load_b128 v[4:7], v174
	ds_load_b128 v[10:13], v174 offset:816
	ds_load_b128 v[14:17], v174 offset:1632
	;; [unrolled: 1-line block ×7, first 2 shown]
	global_wb scope:SCOPE_SE
	s_wait_dscnt 0x0
	s_barrier_signal -1
	s_barrier_wait -1
	global_inv scope:SCOPE_SE
	v_add_f64_e64 v[38:39], v[4:5], -v[0:1]
	v_add_f64_e64 v[40:41], v[6:7], -v[40:41]
	;; [unrolled: 1-line block ×16, first 2 shown]
	v_lshlrev_b32_e32 v0, 4, v74
	v_fma_f64 v[4:5], v[4:5], 2.0, -v[38:39]
	v_fma_f64 v[6:7], v[6:7], 2.0, -v[40:41]
	;; [unrolled: 1-line block ×16, first 2 shown]
	ds_store_b128 v174, v[38:41] offset:6528
	ds_store_b128 v174, v[42:45] offset:7344
	;; [unrolled: 1-line block ×8, first 2 shown]
	ds_store_b128 v174, v[4:7]
	ds_store_b128 v174, v[10:13] offset:816
	ds_store_b128 v174, v[14:17] offset:1632
	;; [unrolled: 1-line block ×7, first 2 shown]
	global_wb scope:SCOPE_SE
	s_wait_dscnt 0x0
	s_barrier_signal -1
	s_barrier_wait -1
	global_inv scope:SCOPE_SE
	ds_load_b128 v[4:7], v174
	v_sub_nc_u32_e32 v14, 0, v0
                                        ; implicit-def: $vgpr0_vgpr1
                                        ; implicit-def: $vgpr10_vgpr11
                                        ; implicit-def: $vgpr12_vgpr13
	s_and_saveexec_b32 s1, s0
	s_wait_alu 0xfffe
	s_xor_b32 s0, exec_lo, s1
	s_cbranch_execz .LBB0_21
; %bb.20:
	global_load_b128 v[15:18], v[2:3], off offset:12784
	ds_load_b128 v[0:3], v14 offset:13056
	s_wait_dscnt 0x0
	v_add_f64_e64 v[10:11], v[4:5], -v[0:1]
	v_add_f64_e32 v[12:13], v[6:7], v[2:3]
	v_add_f64_e64 v[2:3], v[6:7], -v[2:3]
	v_add_f64_e32 v[0:1], v[4:5], v[0:1]
	s_delay_alu instid0(VALU_DEP_4) | instskip(NEXT) | instid1(VALU_DEP_4)
	v_mul_f64_e32 v[6:7], 0.5, v[10:11]
	v_mul_f64_e32 v[4:5], 0.5, v[12:13]
	s_delay_alu instid0(VALU_DEP_4) | instskip(SKIP_1) | instid1(VALU_DEP_3)
	v_mul_f64_e32 v[2:3], 0.5, v[2:3]
	s_wait_loadcnt 0x0
	v_mul_f64_e32 v[10:11], v[6:7], v[17:18]
	s_delay_alu instid0(VALU_DEP_2) | instskip(SKIP_1) | instid1(VALU_DEP_3)
	v_fma_f64 v[12:13], v[4:5], v[17:18], v[2:3]
	v_fma_f64 v[2:3], v[4:5], v[17:18], -v[2:3]
	v_fma_f64 v[19:20], v[0:1], 0.5, v[10:11]
	v_fma_f64 v[0:1], v[0:1], 0.5, -v[10:11]
	s_delay_alu instid0(VALU_DEP_4) | instskip(NEXT) | instid1(VALU_DEP_4)
	v_fma_f64 v[12:13], -v[15:16], v[6:7], v[12:13]
	v_fma_f64 v[2:3], -v[15:16], v[6:7], v[2:3]
	s_delay_alu instid0(VALU_DEP_4) | instskip(NEXT) | instid1(VALU_DEP_4)
	v_fma_f64 v[10:11], v[4:5], v[15:16], v[19:20]
	v_fma_f64 v[0:1], -v[4:5], v[15:16], v[0:1]
                                        ; implicit-def: $vgpr4_vgpr5
.LBB0_21:
	s_wait_alu 0xfffe
	s_and_not1_saveexec_b32 s0, s0
	s_cbranch_execz .LBB0_23
; %bb.22:
	s_wait_dscnt 0x0
	v_add_f64_e32 v[10:11], v[4:5], v[6:7]
	v_add_f64_e64 v[0:1], v[4:5], -v[6:7]
	v_mov_b32_e32 v6, 0
	v_mov_b32_e32 v12, 0
	;; [unrolled: 1-line block ×3, first 2 shown]
	s_delay_alu instid0(VALU_DEP_2)
	v_mov_b32_e32 v2, v12
	ds_load_b64 v[4:5], v6 offset:6536
	v_mov_b32_e32 v3, v13
	s_wait_dscnt 0x0
	v_xor_b32_e32 v5, 0x80000000, v5
	ds_store_b64 v6, v[4:5] offset:6536
.LBB0_23:
	s_wait_alu 0xfffe
	s_or_b32 exec_lo, exec_lo, s0
	s_add_nc_u64 s[0:1], s[8:9], 0x31f0
	v_add_nc_u32_e32 v23, 0x800, v174
	s_wait_alu 0xfffe
	v_add_co_u32 v19, s0, s0, v8
	s_wait_alu 0xf1ff
	v_add_co_ci_u32_e64 v20, s0, s1, v9, s0
	s_wait_dscnt 0x0
	s_clause 0x1
	global_load_b128 v[4:7], v[19:20], off offset:816
	global_load_b128 v[15:18], v[19:20], off offset:1632
	ds_store_2addr_b64 v174, v[10:11], v[12:13] offset1:1
	ds_store_b128 v14, v[0:3] offset:13056
	ds_load_b128 v[0:3], v174 offset:816
	ds_load_b128 v[8:11], v14 offset:12240
	s_wait_dscnt 0x0
	v_add_f64_e64 v[12:13], v[0:1], -v[8:9]
	v_add_f64_e32 v[21:22], v[2:3], v[10:11]
	v_add_f64_e64 v[2:3], v[2:3], -v[10:11]
	v_add_f64_e32 v[0:1], v[0:1], v[8:9]
	s_delay_alu instid0(VALU_DEP_4) | instskip(NEXT) | instid1(VALU_DEP_4)
	v_mul_f64_e32 v[10:11], 0.5, v[12:13]
	v_mul_f64_e32 v[12:13], 0.5, v[21:22]
	s_delay_alu instid0(VALU_DEP_4) | instskip(SKIP_1) | instid1(VALU_DEP_3)
	v_mul_f64_e32 v[2:3], 0.5, v[2:3]
	s_wait_loadcnt 0x1
	v_mul_f64_e32 v[8:9], v[10:11], v[6:7]
	s_delay_alu instid0(VALU_DEP_2) | instskip(SKIP_1) | instid1(VALU_DEP_3)
	v_fma_f64 v[21:22], v[12:13], v[6:7], v[2:3]
	v_fma_f64 v[2:3], v[12:13], v[6:7], -v[2:3]
	v_fma_f64 v[6:7], v[0:1], 0.5, v[8:9]
	v_fma_f64 v[0:1], v[0:1], 0.5, -v[8:9]
	s_delay_alu instid0(VALU_DEP_4) | instskip(NEXT) | instid1(VALU_DEP_4)
	v_fma_f64 v[8:9], -v[4:5], v[10:11], v[21:22]
	v_fma_f64 v[2:3], -v[4:5], v[10:11], v[2:3]
	s_delay_alu instid0(VALU_DEP_4) | instskip(NEXT) | instid1(VALU_DEP_4)
	v_fma_f64 v[10:11], v[12:13], v[4:5], v[6:7]
	v_fma_f64 v[0:1], -v[12:13], v[4:5], v[0:1]
	global_load_b128 v[4:7], v[19:20], off offset:2448
	ds_store_2addr_b64 v174, v[10:11], v[8:9] offset0:102 offset1:103
	ds_store_b128 v14, v[0:3] offset:12240
	ds_load_b128 v[0:3], v174 offset:1632
	ds_load_b128 v[8:11], v14 offset:11424
	s_wait_dscnt 0x0
	v_add_f64_e64 v[12:13], v[0:1], -v[8:9]
	v_add_f64_e32 v[21:22], v[2:3], v[10:11]
	v_add_f64_e64 v[2:3], v[2:3], -v[10:11]
	v_add_f64_e32 v[0:1], v[0:1], v[8:9]
	s_delay_alu instid0(VALU_DEP_4) | instskip(NEXT) | instid1(VALU_DEP_4)
	v_mul_f64_e32 v[10:11], 0.5, v[12:13]
	v_mul_f64_e32 v[12:13], 0.5, v[21:22]
	s_delay_alu instid0(VALU_DEP_4) | instskip(SKIP_1) | instid1(VALU_DEP_3)
	v_mul_f64_e32 v[2:3], 0.5, v[2:3]
	s_wait_loadcnt 0x1
	v_mul_f64_e32 v[8:9], v[10:11], v[17:18]
	s_delay_alu instid0(VALU_DEP_2) | instskip(SKIP_1) | instid1(VALU_DEP_3)
	v_fma_f64 v[21:22], v[12:13], v[17:18], v[2:3]
	v_fma_f64 v[2:3], v[12:13], v[17:18], -v[2:3]
	v_fma_f64 v[17:18], v[0:1], 0.5, v[8:9]
	v_fma_f64 v[0:1], v[0:1], 0.5, -v[8:9]
	s_delay_alu instid0(VALU_DEP_4) | instskip(NEXT) | instid1(VALU_DEP_4)
	v_fma_f64 v[21:22], -v[15:16], v[10:11], v[21:22]
	v_fma_f64 v[2:3], -v[15:16], v[10:11], v[2:3]
	global_load_b128 v[8:11], v[19:20], off offset:3264
	v_fma_f64 v[17:18], v[12:13], v[15:16], v[17:18]
	v_fma_f64 v[0:1], -v[12:13], v[15:16], v[0:1]
	ds_store_2addr_b64 v174, v[17:18], v[21:22] offset0:204 offset1:205
	ds_store_b128 v14, v[0:3] offset:11424
	ds_load_b128 v[0:3], v174 offset:2448
	ds_load_b128 v[15:18], v14 offset:10608
	s_wait_dscnt 0x0
	v_add_f64_e64 v[12:13], v[0:1], -v[15:16]
	v_add_f64_e32 v[21:22], v[2:3], v[17:18]
	v_add_f64_e64 v[2:3], v[2:3], -v[17:18]
	v_add_f64_e32 v[0:1], v[0:1], v[15:16]
	s_delay_alu instid0(VALU_DEP_4) | instskip(NEXT) | instid1(VALU_DEP_4)
	v_mul_f64_e32 v[12:13], 0.5, v[12:13]
	v_mul_f64_e32 v[17:18], 0.5, v[21:22]
	s_delay_alu instid0(VALU_DEP_4) | instskip(SKIP_1) | instid1(VALU_DEP_3)
	v_mul_f64_e32 v[2:3], 0.5, v[2:3]
	s_wait_loadcnt 0x1
	v_mul_f64_e32 v[15:16], v[12:13], v[6:7]
	s_delay_alu instid0(VALU_DEP_2) | instskip(SKIP_1) | instid1(VALU_DEP_3)
	v_fma_f64 v[21:22], v[17:18], v[6:7], v[2:3]
	v_fma_f64 v[2:3], v[17:18], v[6:7], -v[2:3]
	v_fma_f64 v[6:7], v[0:1], 0.5, v[15:16]
	v_fma_f64 v[0:1], v[0:1], 0.5, -v[15:16]
	s_delay_alu instid0(VALU_DEP_4) | instskip(NEXT) | instid1(VALU_DEP_4)
	v_fma_f64 v[15:16], -v[4:5], v[12:13], v[21:22]
	v_fma_f64 v[2:3], -v[4:5], v[12:13], v[2:3]
	s_delay_alu instid0(VALU_DEP_4) | instskip(NEXT) | instid1(VALU_DEP_4)
	v_fma_f64 v[12:13], v[17:18], v[4:5], v[6:7]
	v_fma_f64 v[0:1], -v[17:18], v[4:5], v[0:1]
	global_load_b128 v[4:7], v[19:20], off offset:4080
	ds_store_2addr_b64 v23, v[12:13], v[15:16] offset0:50 offset1:51
	ds_store_b128 v14, v[0:3] offset:10608
	ds_load_b128 v[0:3], v174 offset:3264
	ds_load_b128 v[15:18], v14 offset:9792
	s_wait_dscnt 0x0
	v_add_f64_e64 v[12:13], v[0:1], -v[15:16]
	v_add_f64_e32 v[21:22], v[2:3], v[17:18]
	v_add_f64_e64 v[2:3], v[2:3], -v[17:18]
	v_add_f64_e32 v[0:1], v[0:1], v[15:16]
	s_delay_alu instid0(VALU_DEP_4) | instskip(NEXT) | instid1(VALU_DEP_4)
	v_mul_f64_e32 v[12:13], 0.5, v[12:13]
	v_mul_f64_e32 v[17:18], 0.5, v[21:22]
	s_delay_alu instid0(VALU_DEP_4) | instskip(SKIP_1) | instid1(VALU_DEP_3)
	v_mul_f64_e32 v[2:3], 0.5, v[2:3]
	s_wait_loadcnt 0x1
	v_mul_f64_e32 v[15:16], v[12:13], v[10:11]
	s_delay_alu instid0(VALU_DEP_2) | instskip(SKIP_1) | instid1(VALU_DEP_3)
	v_fma_f64 v[21:22], v[17:18], v[10:11], v[2:3]
	v_fma_f64 v[2:3], v[17:18], v[10:11], -v[2:3]
	v_fma_f64 v[10:11], v[0:1], 0.5, v[15:16]
	v_fma_f64 v[0:1], v[0:1], 0.5, -v[15:16]
	s_delay_alu instid0(VALU_DEP_4) | instskip(NEXT) | instid1(VALU_DEP_4)
	v_fma_f64 v[15:16], -v[8:9], v[12:13], v[21:22]
	v_fma_f64 v[2:3], -v[8:9], v[12:13], v[2:3]
	s_delay_alu instid0(VALU_DEP_4) | instskip(NEXT) | instid1(VALU_DEP_4)
	v_fma_f64 v[12:13], v[17:18], v[8:9], v[10:11]
	v_fma_f64 v[0:1], -v[17:18], v[8:9], v[0:1]
	global_load_b128 v[8:11], v[19:20], off offset:4896
	;; [unrolled: 28-line block ×3, first 2 shown]
	ds_store_2addr_b64 v23, v[12:13], v[15:16] offset0:254 offset1:255
	ds_store_b128 v14, v[0:3] offset:8976
	ds_load_b128 v[0:3], v174 offset:4896
	ds_load_b128 v[15:18], v14 offset:8160
	s_wait_dscnt 0x0
	v_add_f64_e64 v[12:13], v[0:1], -v[15:16]
	v_add_f64_e32 v[19:20], v[2:3], v[17:18]
	v_add_f64_e64 v[2:3], v[2:3], -v[17:18]
	v_add_f64_e32 v[0:1], v[0:1], v[15:16]
	s_delay_alu instid0(VALU_DEP_4) | instskip(NEXT) | instid1(VALU_DEP_4)
	v_mul_f64_e32 v[12:13], 0.5, v[12:13]
	v_mul_f64_e32 v[17:18], 0.5, v[19:20]
	s_delay_alu instid0(VALU_DEP_4) | instskip(SKIP_1) | instid1(VALU_DEP_3)
	v_mul_f64_e32 v[2:3], 0.5, v[2:3]
	s_wait_loadcnt 0x1
	v_mul_f64_e32 v[15:16], v[12:13], v[10:11]
	s_delay_alu instid0(VALU_DEP_2) | instskip(SKIP_1) | instid1(VALU_DEP_3)
	v_fma_f64 v[19:20], v[17:18], v[10:11], v[2:3]
	v_fma_f64 v[2:3], v[17:18], v[10:11], -v[2:3]
	v_fma_f64 v[10:11], v[0:1], 0.5, v[15:16]
	v_fma_f64 v[0:1], v[0:1], 0.5, -v[15:16]
	s_delay_alu instid0(VALU_DEP_4) | instskip(NEXT) | instid1(VALU_DEP_4)
	v_fma_f64 v[15:16], -v[8:9], v[12:13], v[19:20]
	v_fma_f64 v[2:3], -v[8:9], v[12:13], v[2:3]
	s_delay_alu instid0(VALU_DEP_4) | instskip(NEXT) | instid1(VALU_DEP_4)
	v_fma_f64 v[10:11], v[17:18], v[8:9], v[10:11]
	v_fma_f64 v[0:1], -v[17:18], v[8:9], v[0:1]
	v_add_nc_u32_e32 v17, 0x1000, v174
	ds_store_2addr_b64 v17, v[10:11], v[15:16] offset0:100 offset1:101
	ds_store_b128 v14, v[0:3] offset:8160
	ds_load_b128 v[0:3], v174 offset:5712
	ds_load_b128 v[8:11], v14 offset:7344
	s_wait_dscnt 0x0
	v_add_f64_e64 v[12:13], v[0:1], -v[8:9]
	v_add_f64_e32 v[15:16], v[2:3], v[10:11]
	v_add_f64_e64 v[2:3], v[2:3], -v[10:11]
	v_add_f64_e32 v[0:1], v[0:1], v[8:9]
	s_delay_alu instid0(VALU_DEP_4) | instskip(NEXT) | instid1(VALU_DEP_4)
	v_mul_f64_e32 v[10:11], 0.5, v[12:13]
	v_mul_f64_e32 v[12:13], 0.5, v[15:16]
	s_delay_alu instid0(VALU_DEP_4) | instskip(SKIP_1) | instid1(VALU_DEP_3)
	v_mul_f64_e32 v[2:3], 0.5, v[2:3]
	s_wait_loadcnt 0x0
	v_mul_f64_e32 v[8:9], v[10:11], v[6:7]
	s_delay_alu instid0(VALU_DEP_2) | instskip(SKIP_1) | instid1(VALU_DEP_3)
	v_fma_f64 v[15:16], v[12:13], v[6:7], v[2:3]
	v_fma_f64 v[2:3], v[12:13], v[6:7], -v[2:3]
	v_fma_f64 v[6:7], v[0:1], 0.5, v[8:9]
	v_fma_f64 v[0:1], v[0:1], 0.5, -v[8:9]
	s_delay_alu instid0(VALU_DEP_4) | instskip(NEXT) | instid1(VALU_DEP_4)
	v_fma_f64 v[8:9], -v[4:5], v[10:11], v[15:16]
	v_fma_f64 v[2:3], -v[4:5], v[10:11], v[2:3]
	s_delay_alu instid0(VALU_DEP_4) | instskip(NEXT) | instid1(VALU_DEP_4)
	v_fma_f64 v[6:7], v[12:13], v[4:5], v[6:7]
	v_fma_f64 v[0:1], -v[12:13], v[4:5], v[0:1]
	ds_store_2addr_b64 v17, v[6:7], v[8:9] offset0:202 offset1:203
	ds_store_b128 v14, v[0:3] offset:7344
	global_wb scope:SCOPE_SE
	s_wait_dscnt 0x0
	s_barrier_signal -1
	s_barrier_wait -1
	global_inv scope:SCOPE_SE
	s_and_saveexec_b32 s0, vcc_lo
	s_cbranch_execz .LBB0_26
; %bb.24:
	v_mul_lo_u32 v2, s3, v76
	v_mul_lo_u32 v3, s2, v77
	v_mad_co_u64_u32 v[0:1], null, s2, v76, 0
	v_dual_mov_b32 v75, 0 :: v_dual_add_nc_u32 v12, 51, v74
	v_lshlrev_b64_e32 v[10:11], 4, v[72:73]
	v_lshl_add_u32 v28, v74, 4, 0
	s_delay_alu instid0(VALU_DEP_3)
	v_dual_mov_b32 v13, v75 :: v_dual_add_nc_u32 v14, 0x66, v74
	v_add3_u32 v1, v1, v3, v2
	v_lshlrev_b64_e32 v[16:17], 4, v[74:75]
	v_dual_mov_b32 v15, v75 :: v_dual_add_nc_u32 v24, 0x99, v74
	ds_load_b128 v[2:5], v28
	ds_load_b128 v[6:9], v28 offset:816
	v_lshlrev_b64_e32 v[0:1], 4, v[0:1]
	v_lshlrev_b64_e32 v[18:19], 4, v[12:13]
	;; [unrolled: 1-line block ×3, first 2 shown]
	v_dual_mov_b32 v25, v75 :: v_dual_add_nc_u32 v26, 0xcc, v74
	v_mov_b32_e32 v27, v75
	v_add_co_u32 v0, vcc_lo, s6, v0
	s_wait_alu 0xfffd
	v_add_co_ci_u32_e32 v1, vcc_lo, s7, v1, vcc_lo
	v_lshlrev_b64_e32 v[24:25], 4, v[24:25]
	s_delay_alu instid0(VALU_DEP_3) | instskip(SKIP_1) | instid1(VALU_DEP_3)
	v_add_co_u32 v0, vcc_lo, v0, v10
	s_wait_alu 0xfffd
	v_add_co_ci_u32_e32 v1, vcc_lo, v1, v11, vcc_lo
	s_delay_alu instid0(VALU_DEP_2) | instskip(SKIP_1) | instid1(VALU_DEP_2)
	v_add_co_u32 v22, vcc_lo, v0, v16
	s_wait_alu 0xfffd
	v_add_co_ci_u32_e32 v23, vcc_lo, v1, v17, vcc_lo
	ds_load_b128 v[10:13], v28 offset:1632
	ds_load_b128 v[14:17], v28 offset:2448
	v_add_co_u32 v18, vcc_lo, v0, v18
	s_wait_alu 0xfffd
	v_add_co_ci_u32_e32 v19, vcc_lo, v1, v19, vcc_lo
	v_add_co_u32 v20, vcc_lo, v0, v20
	s_wait_alu 0xfffd
	v_add_co_ci_u32_e32 v21, vcc_lo, v1, v21, vcc_lo
	;; [unrolled: 3-line block ×3, first 2 shown]
	s_wait_dscnt 0x3
	global_store_b128 v[22:23], v[2:5], off
	s_wait_dscnt 0x2
	global_store_b128 v[18:19], v[6:9], off
	;; [unrolled: 2-line block ×4, first 2 shown]
	v_add_nc_u32_e32 v10, 0xff, v74
	v_lshlrev_b64_e32 v[2:3], 4, v[26:27]
	v_dual_mov_b32 v11, v75 :: v_dual_add_nc_u32 v12, 0x132, v74
	v_dual_mov_b32 v13, v75 :: v_dual_add_nc_u32 v24, 0x165, v74
	v_dual_mov_b32 v25, v75 :: v_dual_add_nc_u32 v26, 0x198, v74
	s_delay_alu instid0(VALU_DEP_4)
	v_add_co_u32 v18, vcc_lo, v0, v2
	s_wait_alu 0xfffd
	v_add_co_ci_u32_e32 v19, vcc_lo, v1, v3, vcc_lo
	ds_load_b128 v[2:5], v28 offset:3264
	ds_load_b128 v[6:9], v28 offset:4080
	v_lshlrev_b64_e32 v[20:21], 4, v[10:11]
	v_lshlrev_b64_e32 v[22:23], 4, v[12:13]
	ds_load_b128 v[10:13], v28 offset:4896
	ds_load_b128 v[14:17], v28 offset:5712
	v_lshlrev_b64_e32 v[24:25], 4, v[24:25]
	v_add_co_u32 v20, vcc_lo, v0, v20
	s_wait_alu 0xfffd
	v_add_co_ci_u32_e32 v21, vcc_lo, v1, v21, vcc_lo
	v_add_co_u32 v22, vcc_lo, v0, v22
	s_wait_alu 0xfffd
	v_add_co_ci_u32_e32 v23, vcc_lo, v1, v23, vcc_lo
	;; [unrolled: 3-line block ×3, first 2 shown]
	s_wait_dscnt 0x3
	global_store_b128 v[18:19], v[2:5], off
	s_wait_dscnt 0x2
	global_store_b128 v[20:21], v[6:9], off
	;; [unrolled: 2-line block ×4, first 2 shown]
	v_lshlrev_b64_e32 v[2:3], 4, v[26:27]
	v_dual_mov_b32 v11, v75 :: v_dual_add_nc_u32 v10, 0x1cb, v74
	v_dual_mov_b32 v13, v75 :: v_dual_add_nc_u32 v12, 0x1fe, v74
	;; [unrolled: 1-line block ×3, first 2 shown]
	s_delay_alu instid0(VALU_DEP_4)
	v_add_co_u32 v18, vcc_lo, v0, v2
	s_wait_alu 0xfffd
	v_add_co_ci_u32_e32 v19, vcc_lo, v1, v3, vcc_lo
	ds_load_b128 v[2:5], v28 offset:6528
	ds_load_b128 v[6:9], v28 offset:7344
	v_lshlrev_b64_e32 v[20:21], 4, v[10:11]
	v_lshlrev_b64_e32 v[22:23], 4, v[12:13]
	ds_load_b128 v[10:13], v28 offset:8160
	ds_load_b128 v[14:17], v28 offset:8976
	v_lshlrev_b64_e32 v[24:25], 4, v[24:25]
	v_add_nc_u32_e32 v26, 0x264, v74
	v_add_co_u32 v20, vcc_lo, v0, v20
	s_wait_alu 0xfffd
	v_add_co_ci_u32_e32 v21, vcc_lo, v1, v21, vcc_lo
	v_add_co_u32 v22, vcc_lo, v0, v22
	s_wait_alu 0xfffd
	v_add_co_ci_u32_e32 v23, vcc_lo, v1, v23, vcc_lo
	;; [unrolled: 3-line block ×3, first 2 shown]
	s_wait_dscnt 0x3
	global_store_b128 v[18:19], v[2:5], off
	s_wait_dscnt 0x2
	global_store_b128 v[20:21], v[6:9], off
	;; [unrolled: 2-line block ×4, first 2 shown]
	v_mov_b32_e32 v11, v75
	v_lshlrev_b64_e32 v[2:3], 4, v[26:27]
	v_dual_mov_b32 v13, v75 :: v_dual_add_nc_u32 v10, 0x297, v74
	v_dual_mov_b32 v25, v75 :: v_dual_add_nc_u32 v12, 0x2ca, v74
	v_add_nc_u32_e32 v24, 0x2fd, v74
	s_delay_alu instid0(VALU_DEP_4)
	v_add_co_u32 v18, vcc_lo, v0, v2
	s_wait_alu 0xfffd
	v_add_co_ci_u32_e32 v19, vcc_lo, v1, v3, vcc_lo
	ds_load_b128 v[2:5], v28 offset:9792
	ds_load_b128 v[6:9], v28 offset:10608
	v_lshlrev_b64_e32 v[20:21], 4, v[10:11]
	v_lshlrev_b64_e32 v[22:23], 4, v[12:13]
	ds_load_b128 v[10:13], v28 offset:11424
	ds_load_b128 v[14:17], v28 offset:12240
	v_lshlrev_b64_e32 v[24:25], 4, v[24:25]
	v_add_co_u32 v20, vcc_lo, v0, v20
	s_wait_alu 0xfffd
	v_add_co_ci_u32_e32 v21, vcc_lo, v1, v21, vcc_lo
	v_add_co_u32 v22, vcc_lo, v0, v22
	s_wait_alu 0xfffd
	v_add_co_ci_u32_e32 v23, vcc_lo, v1, v23, vcc_lo
	;; [unrolled: 3-line block ×3, first 2 shown]
	v_cmp_eq_u32_e32 vcc_lo, 50, v74
	s_wait_dscnt 0x3
	global_store_b128 v[18:19], v[2:5], off
	s_wait_dscnt 0x2
	global_store_b128 v[20:21], v[6:9], off
	;; [unrolled: 2-line block ×4, first 2 shown]
	s_and_b32 exec_lo, exec_lo, vcc_lo
	s_cbranch_execz .LBB0_26
; %bb.25:
	ds_load_b128 v[2:5], v75 offset:13056
	s_wait_dscnt 0x0
	global_store_b128 v[0:1], v[2:5], off offset:13056
.LBB0_26:
	s_nop 0
	s_sendmsg sendmsg(MSG_DEALLOC_VGPRS)
	s_endpgm
	.section	.rodata,"a",@progbits
	.p2align	6, 0x0
	.amdhsa_kernel fft_rtc_back_len816_factors_17_2_3_2_2_2_wgs_51_tpt_51_halfLds_dp_op_CI_CI_unitstride_sbrr_R2C_dirReg
		.amdhsa_group_segment_fixed_size 0
		.amdhsa_private_segment_fixed_size 0
		.amdhsa_kernarg_size 104
		.amdhsa_user_sgpr_count 2
		.amdhsa_user_sgpr_dispatch_ptr 0
		.amdhsa_user_sgpr_queue_ptr 0
		.amdhsa_user_sgpr_kernarg_segment_ptr 1
		.amdhsa_user_sgpr_dispatch_id 0
		.amdhsa_user_sgpr_private_segment_size 0
		.amdhsa_wavefront_size32 1
		.amdhsa_uses_dynamic_stack 0
		.amdhsa_enable_private_segment 0
		.amdhsa_system_sgpr_workgroup_id_x 1
		.amdhsa_system_sgpr_workgroup_id_y 0
		.amdhsa_system_sgpr_workgroup_id_z 0
		.amdhsa_system_sgpr_workgroup_info 0
		.amdhsa_system_vgpr_workitem_id 0
		.amdhsa_next_free_vgpr 251
		.amdhsa_next_free_sgpr 54
		.amdhsa_reserve_vcc 1
		.amdhsa_float_round_mode_32 0
		.amdhsa_float_round_mode_16_64 0
		.amdhsa_float_denorm_mode_32 3
		.amdhsa_float_denorm_mode_16_64 3
		.amdhsa_fp16_overflow 0
		.amdhsa_workgroup_processor_mode 1
		.amdhsa_memory_ordered 1
		.amdhsa_forward_progress 0
		.amdhsa_round_robin_scheduling 0
		.amdhsa_exception_fp_ieee_invalid_op 0
		.amdhsa_exception_fp_denorm_src 0
		.amdhsa_exception_fp_ieee_div_zero 0
		.amdhsa_exception_fp_ieee_overflow 0
		.amdhsa_exception_fp_ieee_underflow 0
		.amdhsa_exception_fp_ieee_inexact 0
		.amdhsa_exception_int_div_zero 0
	.end_amdhsa_kernel
	.text
.Lfunc_end0:
	.size	fft_rtc_back_len816_factors_17_2_3_2_2_2_wgs_51_tpt_51_halfLds_dp_op_CI_CI_unitstride_sbrr_R2C_dirReg, .Lfunc_end0-fft_rtc_back_len816_factors_17_2_3_2_2_2_wgs_51_tpt_51_halfLds_dp_op_CI_CI_unitstride_sbrr_R2C_dirReg
                                        ; -- End function
	.section	.AMDGPU.csdata,"",@progbits
; Kernel info:
; codeLenInByte = 15968
; NumSgprs: 56
; NumVgprs: 251
; ScratchSize: 0
; MemoryBound: 0
; FloatMode: 240
; IeeeMode: 1
; LDSByteSize: 0 bytes/workgroup (compile time only)
; SGPRBlocks: 6
; VGPRBlocks: 31
; NumSGPRsForWavesPerEU: 56
; NumVGPRsForWavesPerEU: 251
; Occupancy: 5
; WaveLimiterHint : 1
; COMPUTE_PGM_RSRC2:SCRATCH_EN: 0
; COMPUTE_PGM_RSRC2:USER_SGPR: 2
; COMPUTE_PGM_RSRC2:TRAP_HANDLER: 0
; COMPUTE_PGM_RSRC2:TGID_X_EN: 1
; COMPUTE_PGM_RSRC2:TGID_Y_EN: 0
; COMPUTE_PGM_RSRC2:TGID_Z_EN: 0
; COMPUTE_PGM_RSRC2:TIDIG_COMP_CNT: 0
	.text
	.p2alignl 7, 3214868480
	.fill 96, 4, 3214868480
	.type	__hip_cuid_cc9e59a8530f706e,@object ; @__hip_cuid_cc9e59a8530f706e
	.section	.bss,"aw",@nobits
	.globl	__hip_cuid_cc9e59a8530f706e
__hip_cuid_cc9e59a8530f706e:
	.byte	0                               ; 0x0
	.size	__hip_cuid_cc9e59a8530f706e, 1

	.ident	"AMD clang version 19.0.0git (https://github.com/RadeonOpenCompute/llvm-project roc-6.4.0 25133 c7fe45cf4b819c5991fe208aaa96edf142730f1d)"
	.section	".note.GNU-stack","",@progbits
	.addrsig
	.addrsig_sym __hip_cuid_cc9e59a8530f706e
	.amdgpu_metadata
---
amdhsa.kernels:
  - .args:
      - .actual_access:  read_only
        .address_space:  global
        .offset:         0
        .size:           8
        .value_kind:     global_buffer
      - .offset:         8
        .size:           8
        .value_kind:     by_value
      - .actual_access:  read_only
        .address_space:  global
        .offset:         16
        .size:           8
        .value_kind:     global_buffer
      - .actual_access:  read_only
        .address_space:  global
        .offset:         24
        .size:           8
        .value_kind:     global_buffer
      - .actual_access:  read_only
        .address_space:  global
        .offset:         32
        .size:           8
        .value_kind:     global_buffer
      - .offset:         40
        .size:           8
        .value_kind:     by_value
      - .actual_access:  read_only
        .address_space:  global
        .offset:         48
        .size:           8
        .value_kind:     global_buffer
      - .actual_access:  read_only
        .address_space:  global
        .offset:         56
        .size:           8
        .value_kind:     global_buffer
      - .offset:         64
        .size:           4
        .value_kind:     by_value
      - .actual_access:  read_only
        .address_space:  global
        .offset:         72
        .size:           8
        .value_kind:     global_buffer
      - .actual_access:  read_only
        .address_space:  global
        .offset:         80
        .size:           8
        .value_kind:     global_buffer
      - .actual_access:  read_only
        .address_space:  global
        .offset:         88
        .size:           8
        .value_kind:     global_buffer
      - .actual_access:  write_only
        .address_space:  global
        .offset:         96
        .size:           8
        .value_kind:     global_buffer
    .group_segment_fixed_size: 0
    .kernarg_segment_align: 8
    .kernarg_segment_size: 104
    .language:       OpenCL C
    .language_version:
      - 2
      - 0
    .max_flat_workgroup_size: 51
    .name:           fft_rtc_back_len816_factors_17_2_3_2_2_2_wgs_51_tpt_51_halfLds_dp_op_CI_CI_unitstride_sbrr_R2C_dirReg
    .private_segment_fixed_size: 0
    .sgpr_count:     56
    .sgpr_spill_count: 0
    .symbol:         fft_rtc_back_len816_factors_17_2_3_2_2_2_wgs_51_tpt_51_halfLds_dp_op_CI_CI_unitstride_sbrr_R2C_dirReg.kd
    .uniform_work_group_size: 1
    .uses_dynamic_stack: false
    .vgpr_count:     251
    .vgpr_spill_count: 0
    .wavefront_size: 32
    .workgroup_processor_mode: 1
amdhsa.target:   amdgcn-amd-amdhsa--gfx1201
amdhsa.version:
  - 1
  - 2
...

	.end_amdgpu_metadata
